;; amdgpu-corpus repo=ROCm/rocFFT kind=compiled arch=gfx1201 opt=O3
	.text
	.amdgcn_target "amdgcn-amd-amdhsa--gfx1201"
	.amdhsa_code_object_version 6
	.protected	bluestein_single_fwd_len1350_dim1_half_op_CI_CI ; -- Begin function bluestein_single_fwd_len1350_dim1_half_op_CI_CI
	.globl	bluestein_single_fwd_len1350_dim1_half_op_CI_CI
	.p2align	8
	.type	bluestein_single_fwd_len1350_dim1_half_op_CI_CI,@function
bluestein_single_fwd_len1350_dim1_half_op_CI_CI: ; @bluestein_single_fwd_len1350_dim1_half_op_CI_CI
; %bb.0:
	s_load_b128 s[16:19], s[0:1], 0x28
	v_mul_u32_u24_e32 v1, 0x1e6, v0
	s_mov_b32 s2, exec_lo
	v_mov_b32_e32 v9, 0
	s_delay_alu instid0(VALU_DEP_2) | instskip(NEXT) | instid1(VALU_DEP_1)
	v_lshrrev_b32_e32 v1, 16, v1
	v_add_nc_u32_e32 v8, ttmp9, v1
	s_wait_kmcnt 0x0
	s_delay_alu instid0(VALU_DEP_1)
	v_cmpx_gt_u64_e64 s[16:17], v[8:9]
	s_cbranch_execz .LBB0_26
; %bb.1:
	s_clause 0x1
	s_load_b128 s[4:7], s[0:1], 0x18
	s_load_b128 s[8:11], s[0:1], 0x0
	v_mul_lo_u16 v1, 0x87, v1
	s_delay_alu instid0(VALU_DEP_1) | instskip(NEXT) | instid1(VALU_DEP_1)
	v_sub_nc_u16 v9, v0, v1
	v_and_b32_e32 v57, 0xffff, v9
	v_mul_lo_u16 v16, v9, 5
	s_delay_alu instid0(VALU_DEP_2)
	v_lshlrev_b32_e32 v59, 2, v57
	s_wait_kmcnt 0x0
	s_load_b128 s[12:15], s[4:5], 0x0
	s_clause 0x9
	global_load_b32 v62, v59, s[8:9]
	global_load_b32 v54, v59, s[8:9] offset:4320
	global_load_b32 v46, v59, s[8:9] offset:3780
	;; [unrolled: 1-line block ×9, first 2 shown]
	v_add_nc_u32_e32 v11, 0x400, v59
	v_add_nc_u32_e32 v19, 0xc00, v59
	;; [unrolled: 1-line block ×4, first 2 shown]
	s_wait_kmcnt 0x0
	v_mad_co_u64_u32 v[0:1], null, s14, v8, 0
	v_mad_co_u64_u32 v[2:3], null, s12, v57, 0
	s_mul_u64 s[2:3], s[12:13], 0x438
	s_mul_i32 s4, s13, 0xfffff13c
	s_delay_alu instid0(SALU_CYCLE_1) | instskip(NEXT) | instid1(VALU_DEP_1)
	s_sub_co_i32 s4, s4, s12
	v_mad_co_u64_u32 v[4:5], null, s15, v8, v[1:2]
	s_delay_alu instid0(VALU_DEP_1) | instskip(SKIP_1) | instid1(VALU_DEP_1)
	v_mad_co_u64_u32 v[5:6], null, s13, v57, v[3:4]
	v_mov_b32_e32 v1, v4
	v_lshlrev_b64_e32 v[0:1], 2, v[0:1]
	s_delay_alu instid0(VALU_DEP_3) | instskip(NEXT) | instid1(VALU_DEP_2)
	v_mov_b32_e32 v3, v5
	v_add_co_u32 v0, vcc_lo, s18, v0
	s_delay_alu instid0(VALU_DEP_2) | instskip(NEXT) | instid1(VALU_DEP_4)
	v_lshlrev_b64_e32 v[2:3], 2, v[2:3]
	v_add_co_ci_u32_e32 v1, vcc_lo, s19, v1, vcc_lo
	s_delay_alu instid0(VALU_DEP_2) | instskip(SKIP_1) | instid1(VALU_DEP_2)
	v_add_co_u32 v0, vcc_lo, v0, v2
	s_wait_alu 0xfffd
	v_add_co_ci_u32_e32 v1, vcc_lo, v1, v3, vcc_lo
	s_delay_alu instid0(VALU_DEP_2) | instskip(SKIP_1) | instid1(VALU_DEP_2)
	v_add_co_u32 v2, vcc_lo, v0, s2
	s_wait_alu 0xfffd
	v_add_co_ci_u32_e32 v3, vcc_lo, s3, v1, vcc_lo
	s_clause 0x1
	global_load_b32 v6, v[0:1], off
	global_load_b32 v7, v[2:3], off
	v_add_co_u32 v0, vcc_lo, v2, s2
	s_wait_alu 0xfffd
	v_add_co_ci_u32_e32 v1, vcc_lo, s3, v3, vcc_lo
	s_delay_alu instid0(VALU_DEP_2) | instskip(SKIP_1) | instid1(VALU_DEP_2)
	v_add_co_u32 v4, vcc_lo, v0, s2
	s_wait_alu 0xfffd
	v_add_co_ci_u32_e32 v5, vcc_lo, s3, v1, vcc_lo
	global_load_b32 v12, v[0:1], off
	v_add_co_u32 v2, vcc_lo, v4, s2
	s_wait_alu 0xfffd
	v_add_co_ci_u32_e32 v3, vcc_lo, s3, v5, vcc_lo
	s_clause 0x1
	global_load_b32 v4, v[4:5], off
	global_load_b32 v5, v[2:3], off
	v_mad_co_u64_u32 v[0:1], null, 0xfffff13c, s12, v[2:3]
	s_load_b64 s[12:13], s[0:1], 0x38
	s_delay_alu instid0(VALU_DEP_1) | instskip(SKIP_4) | instid1(VALU_DEP_2)
	v_add_nc_u32_e32 v1, s4, v1
	global_load_b32 v13, v[0:1], off
	v_add_co_u32 v0, vcc_lo, v0, s2
	s_wait_alu 0xfffd
	v_add_co_ci_u32_e32 v1, vcc_lo, s3, v1, vcc_lo
	v_add_co_u32 v2, vcc_lo, v0, s2
	s_wait_alu 0xfffd
	s_delay_alu instid0(VALU_DEP_2)
	v_add_co_ci_u32_e32 v3, vcc_lo, s3, v1, vcc_lo
	global_load_b32 v14, v[0:1], off
	v_add_co_u32 v0, vcc_lo, v2, s2
	s_wait_alu 0xfffd
	v_add_co_ci_u32_e32 v1, vcc_lo, s3, v3, vcc_lo
	global_load_b32 v15, v[2:3], off
	v_add_co_u32 v2, vcc_lo, v0, s2
	s_wait_alu 0xfffd
	v_add_co_ci_u32_e32 v3, vcc_lo, s3, v1, vcc_lo
	global_load_b32 v0, v[0:1], off
	global_load_b32 v1, v[2:3], off
	v_and_b32_e32 v2, 0xff, v9
	s_load_b128 s[4:7], s[6:7], 0x0
	v_add_co_u32 v103, s2, 0x87, v57
	s_wait_alu 0xf1ff
	v_add_co_ci_u32_e64 v35, null, 0, 0, s2
	v_mul_lo_u16 v2, 0xcd, v2
	v_cmp_gt_u16_e32 vcc_lo, 45, v9
	s_delay_alu instid0(VALU_DEP_2) | instskip(NEXT) | instid1(VALU_DEP_1)
	v_lshrrev_b16 v18, 10, v2
	v_mul_lo_u16 v17, v18, 5
	s_wait_loadcnt 0x11
	v_lshrrev_b32_e32 v49, 16, v46
	s_wait_loadcnt 0x10
	v_lshrrev_b32_e32 v60, 16, v56
	;; [unrolled: 2-line block ×4, first 2 shown]
	v_lshrrev_b32_e32 v66, 16, v62
	s_wait_loadcnt 0xc
	v_lshrrev_b32_e32 v65, 16, v63
	v_lshrrev_b32_e32 v58, 16, v54
	s_wait_loadcnt 0xb
	v_lshrrev_b32_e32 v55, 16, v52
	;; [unrolled: 3-line block ×3, first 2 shown]
	s_wait_loadcnt 0x9
	v_lshrrev_b32_e32 v2, 16, v6
	v_mul_f16_e32 v3, v66, v6
	s_wait_loadcnt 0x8
	v_lshrrev_b32_e32 v22, 16, v7
	v_mul_f16_e32 v23, v65, v7
	v_mul_f16_e32 v21, v66, v2
	v_fma_f16 v2, v62, v2, -v3
	s_delay_alu instid0(VALU_DEP_4) | instskip(NEXT) | instid1(VALU_DEP_4)
	v_mul_f16_e32 v3, v65, v22
	v_fma_f16 v22, v63, v22, -v23
	s_delay_alu instid0(VALU_DEP_4) | instskip(SKIP_3) | instid1(VALU_DEP_3)
	v_fmac_f16_e32 v21, v62, v6
	s_wait_loadcnt 0x7
	v_lshrrev_b32_e32 v6, 16, v12
	v_mul_f16_e32 v23, v64, v12
	v_pack_b32_f16 v2, v21, v2
	v_fmac_f16_e32 v3, v63, v7
	s_delay_alu instid0(VALU_DEP_4)
	v_mul_f16_e32 v7, v64, v6
	s_wait_loadcnt 0x6
	v_lshrrev_b32_e32 v21, 16, v4
	v_fma_f16 v6, v61, v6, -v23
	s_wait_loadcnt 0x5
	v_lshrrev_b32_e32 v23, 16, v5
	v_mul_f16_e32 v24, v60, v4
	v_pack_b32_f16 v3, v3, v22
	v_mul_f16_e32 v22, v60, v21
	v_mul_f16_e32 v25, v58, v5
	;; [unrolled: 1-line block ×3, first 2 shown]
	v_fmac_f16_e32 v7, v61, v12
	v_fma_f16 v12, v56, v21, -v24
	v_fmac_f16_e32 v22, v56, v4
	v_fma_f16 v4, v54, v23, -v25
	v_fmac_f16_e32 v26, v54, v5
	v_pack_b32_f16 v6, v7, v6
	s_delay_alu instid0(VALU_DEP_4)
	v_pack_b32_f16 v7, v22, v12
	s_wait_loadcnt 0x4
	v_lshrrev_b32_e32 v5, 16, v13
	v_mul_f16_e32 v21, v55, v13
	v_pack_b32_f16 v4, v26, v4
	ds_store_b32 v59, v3 offset:1080
	ds_store_b32 v59, v6 offset:2160
	;; [unrolled: 1-line block ×4, first 2 shown]
	v_mul_f16_e32 v12, v55, v5
	v_fma_f16 v5, v52, v5, -v21
	s_wait_loadcnt 0x3
	v_lshrrev_b32_e32 v21, 16, v14
	v_mul_f16_e32 v22, v53, v14
	v_fmac_f16_e32 v12, v52, v13
	s_delay_alu instid0(VALU_DEP_3)
	v_mul_f16_e32 v3, v53, v21
	s_wait_loadcnt 0x2
	v_lshrrev_b32_e32 v4, 16, v15
	v_mul_f16_e32 v7, v51, v15
	v_fma_f16 v6, v50, v21, -v22
	v_fmac_f16_e32 v3, v50, v14
	s_wait_loadcnt 0x1
	v_lshrrev_b32_e32 v13, 16, v0
	s_wait_loadcnt 0x0
	v_lshrrev_b32_e32 v21, 16, v1
	v_mul_f16_e32 v14, v51, v4
	v_fma_f16 v4, v48, v4, -v7
	v_mul_f16_e32 v7, v49, v0
	v_mul_f16_e32 v22, v49, v13
	;; [unrolled: 1-line block ×4, first 2 shown]
	v_fmac_f16_e32 v14, v48, v15
	v_fma_f16 v7, v46, v13, -v7
	v_fmac_f16_e32 v22, v46, v0
	v_fma_f16 v0, v45, v21, -v23
	v_fmac_f16_e32 v24, v45, v1
	v_pack_b32_f16 v1, v12, v5
	v_pack_b32_f16 v3, v3, v6
	;; [unrolled: 1-line block ×5, first 2 shown]
	ds_store_2addr_b32 v59, v2, v1 offset1:135
	ds_store_b32 v59, v3 offset:1620
	ds_store_b32 v59, v4 offset:2700
	;; [unrolled: 1-line block ×4, first 2 shown]
	global_wb scope:SCOPE_SE
	s_wait_dscnt 0x0
	s_wait_kmcnt 0x0
	s_barrier_signal -1
	s_barrier_wait -1
	global_inv scope:SCOPE_SE
	ds_load_2addr_b32 v[0:1], v59 offset1:135
	ds_load_2addr_b32 v[2:3], v11 offset0:14 offset1:149
	ds_load_2addr_b32 v[4:5], v10 offset0:28 offset1:163
	;; [unrolled: 1-line block ×4, first 2 shown]
	v_and_b32_e32 v15, 0xffff, v16
	v_mul_u32_u24_e32 v16, 5, v103
	v_sub_nc_u16 v14, v9, v17
	global_wb scope:SCOPE_SE
	s_wait_dscnt 0x0
	s_barrier_signal -1
	v_lshlrev_b32_e32 v70, 2, v15
	v_lshlrev_b32_e32 v69, 2, v16
	v_and_b32_e32 v22, 0xff, v14
	s_barrier_wait -1
	global_inv scope:SCOPE_SE
                                        ; kill: def $vgpr9 killed $sgpr0 killed $exec
	v_mad_co_u64_u32 v[14:15], null, v22, 36, s[10:11]
	v_pk_add_f16 v16, v1, v3
	v_pk_add_f16 v17, v0, v2
	;; [unrolled: 1-line block ×3, first 2 shown]
	v_pk_add_f16 v23, v2, v12 neg_lo:[0,1] neg_hi:[0,1]
	v_pk_add_f16 v24, v4, v6 neg_lo:[0,1] neg_hi:[0,1]
	v_pk_add_f16 v27, v2, v12
	v_pk_add_f16 v25, v2, v4 neg_lo:[0,1] neg_hi:[0,1]
	v_pk_add_f16 v26, v12, v6 neg_lo:[0,1] neg_hi:[0,1]
	v_pk_add_f16 v29, v5, v7
	v_pk_add_f16 v30, v3, v13 neg_lo:[0,1] neg_hi:[0,1]
	v_pk_add_f16 v2, v4, v2 neg_lo:[0,1] neg_hi:[0,1]
	;; [unrolled: 1-line block ×4, first 2 shown]
	v_pk_add_f16 v34, v3, v13
	v_pk_add_f16 v32, v3, v5 neg_lo:[0,1] neg_hi:[0,1]
	v_pk_add_f16 v3, v5, v3 neg_lo:[0,1] neg_hi:[0,1]
	v_pk_add_f16 v5, v16, v5
	v_pk_add_f16 v4, v17, v4
	v_pk_fma_f16 v16, v21, 0.5, v0 op_sel_hi:[1,0,1] neg_lo:[1,0,0] neg_hi:[1,0,0]
	v_pk_mul_f16 v17, 0x3b9c, v23 op_sel_hi:[0,1]
	v_pk_mul_f16 v21, 0x38b4, v24 op_sel_hi:[0,1]
	v_pk_fma_f16 v0, v27, 0.5, v0 op_sel_hi:[1,0,1] neg_lo:[1,0,0] neg_hi:[1,0,0]
	v_pk_mul_f16 v24, 0x3b9c, v24 op_sel_hi:[0,1]
	v_pk_add_f16 v25, v25, v26
	v_pk_fma_f16 v26, v29, 0.5, v1 op_sel_hi:[1,0,1] neg_lo:[1,0,0] neg_hi:[1,0,0]
	v_pk_mul_f16 v27, 0x3b9c, v30 op_sel_hi:[0,1]
	v_pk_add_f16 v2, v2, v28
	v_pk_mul_f16 v28, 0x38b4, v31 op_sel_hi:[0,1]
	v_pk_fma_f16 v1, v34, 0.5, v1 op_sel_hi:[1,0,1] neg_lo:[1,0,0] neg_hi:[1,0,0]
	v_pk_mul_f16 v31, 0x3b9c, v31 op_sel_hi:[0,1]
	v_pk_add_f16 v33, v13, v7 neg_lo:[0,1] neg_hi:[0,1]
	v_pk_add_f16 v36, v7, v13 neg_lo:[0,1] neg_hi:[0,1]
	v_pk_add_f16 v5, v5, v7
	v_pk_add_f16 v4, v4, v6
	v_pk_add_f16 v6, v16, v17 op_sel:[0,1] op_sel_hi:[1,0]
	v_pk_add_f16 v7, v16, v17 op_sel:[0,1] op_sel_hi:[1,0] neg_lo:[0,1] neg_hi:[0,1]
	v_pk_mul_f16 v23, 0x38b4, v23 op_sel_hi:[0,1]
	v_pk_add_f16 v16, v0, v24 op_sel:[0,1] op_sel_hi:[1,0] neg_lo:[0,1] neg_hi:[0,1]
	v_pk_add_f16 v0, v0, v24 op_sel:[0,1] op_sel_hi:[1,0]
	v_pk_add_f16 v17, v26, v27 op_sel:[0,1] op_sel_hi:[1,0]
	v_pk_add_f16 v24, v26, v27 op_sel:[0,1] op_sel_hi:[1,0] neg_lo:[0,1] neg_hi:[0,1]
	v_pk_mul_f16 v30, 0x38b4, v30 op_sel_hi:[0,1]
	v_pk_add_f16 v26, v1, v31 op_sel:[0,1] op_sel_hi:[1,0] neg_lo:[0,1] neg_hi:[0,1]
	v_pk_add_f16 v1, v1, v31 op_sel:[0,1] op_sel_hi:[1,0]
	v_pk_add_f16 v6, v6, v21 op_sel:[0,1] op_sel_hi:[1,0]
	v_pk_add_f16 v7, v7, v21 op_sel:[0,1] op_sel_hi:[1,0] neg_lo:[0,1] neg_hi:[0,1]
	v_pk_add_f16 v4, v4, v12
	v_pk_add_f16 v12, v16, v23 op_sel:[0,1] op_sel_hi:[1,0]
	v_pk_add_f16 v0, v0, v23 op_sel:[0,1] op_sel_hi:[1,0] neg_lo:[0,1] neg_hi:[0,1]
	v_pk_add_f16 v5, v5, v13
	v_pk_add_f16 v13, v17, v28 op_sel:[0,1] op_sel_hi:[1,0]
	v_pk_add_f16 v16, v24, v28 op_sel:[0,1] op_sel_hi:[1,0] neg_lo:[0,1] neg_hi:[0,1]
	v_pk_add_f16 v17, v26, v30 op_sel:[0,1] op_sel_hi:[1,0]
	v_pk_add_f16 v1, v1, v30 op_sel:[0,1] op_sel_hi:[1,0] neg_lo:[0,1] neg_hi:[0,1]
	v_bfi_b32 v21, 0xffff, v6, v7
	v_bfi_b32 v23, 0xffff, v12, v0
	;; [unrolled: 1-line block ×4, first 2 shown]
	v_pk_add_f16 v29, v32, v33
	v_bfi_b32 v7, 0xffff, v13, v16
	v_pk_add_f16 v3, v3, v36
	v_bfi_b32 v12, 0xffff, v17, v1
	v_bfi_b32 v1, 0xffff, v1, v17
	;; [unrolled: 1-line block ×3, first 2 shown]
	v_pk_fma_f16 v16, 0x34f2, v25, v21 op_sel_hi:[0,1,1]
	v_pk_fma_f16 v17, 0x34f2, v2, v23 op_sel_hi:[0,1,1]
	;; [unrolled: 1-line block ×8, first 2 shown]
	ds_store_2addr_b32 v70, v4, v16 offset1:1
	ds_store_2addr_b32 v70, v17, v0 offset0:2 offset1:3
	ds_store_b32 v70, v2 offset:16
	ds_store_2addr_b32 v69, v5, v6 offset1:1
	ds_store_2addr_b32 v69, v7, v1 offset0:2 offset1:3
	ds_store_b32 v69, v3 offset:16
	global_wb scope:SCOPE_SE
	s_wait_dscnt 0x0
	s_barrier_signal -1
	s_barrier_wait -1
	global_inv scope:SCOPE_SE
	s_clause 0x2
	global_load_b128 v[0:3], v[14:15], off
	global_load_b128 v[4:7], v[14:15], off offset:16
	global_load_b32 v67, v[14:15], off offset:32
	ds_load_2addr_b32 v[12:13], v59 offset1:135
	ds_load_2addr_b32 v[14:15], v11 offset0:14 offset1:149
	ds_load_2addr_b32 v[16:17], v10 offset0:28 offset1:163
	v_and_b32_e32 v23, 0xffff, v18
	ds_load_2addr_b32 v[18:19], v19 offset0:42 offset1:177
	ds_load_2addr_b32 v[20:21], v20 offset0:56 offset1:191
	v_add_nc_u32_e32 v24, 0xe00, v59
	global_wb scope:SCOPE_SE
	s_wait_loadcnt_dscnt 0x0
	s_barrier_signal -1
	v_mul_u32_u24_e32 v23, 50, v23
	s_barrier_wait -1
	global_inv scope:SCOPE_SE
	v_add_lshl_u32 v68, v23, v22, 2
	v_lshrrev_b32_e32 v23, 16, v13
	v_lshrrev_b32_e32 v25, 16, v14
	;; [unrolled: 1-line block ×19, first 2 shown]
	v_mul_f16_e32 v33, v23, v79
	v_mul_f16_e32 v34, v13, v79
	;; [unrolled: 1-line block ×18, first 2 shown]
	v_fma_f16 v13, v13, v0, -v33
	v_fmac_f16_e32 v34, v23, v0
	v_fma_f16 v14, v14, v1, -v36
	v_fmac_f16_e32 v37, v25, v1
	;; [unrolled: 2-line block ×9, first 2 shown]
	v_add_f16_e32 v23, v12, v14
	v_add_f16_e32 v25, v16, v18
	v_sub_f16_e32 v28, v14, v16
	v_sub_f16_e32 v29, v20, v18
	v_add_f16_e32 v30, v14, v20
	v_sub_f16_e32 v31, v16, v14
	v_sub_f16_e32 v32, v18, v20
	v_add_f16_e32 v33, v22, v37
	v_add_f16_e32 v36, v41, v80
	v_sub_f16_e32 v40, v37, v41
	v_sub_f16_e32 v42, v84, v80
	v_add_f16_e32 v83, v13, v15
	v_add_f16_e32 v85, v17, v19
	v_add_f16_e32 v94, v34, v39
	v_add_f16_e32 v95, v43, v82
	v_add_f16_e32 v91, v15, v21
	v_add_f16_e32 v99, v39, v86
	v_sub_f16_e32 v26, v37, v84
	v_sub_f16_e32 v27, v41, v80
	v_sub_f16_e32 v38, v16, v18
	v_add_f16_e32 v44, v37, v84
	v_sub_f16_e32 v37, v41, v37
	v_sub_f16_e32 v87, v39, v86
	;; [unrolled: 1-line block ×6, first 2 shown]
	v_add_f16_e32 v16, v23, v16
	v_add_f16_e32 v23, v28, v29
	v_fma_f16 v25, -0.5, v25, v12
	v_fmac_f16_e32 v12, -0.5, v30
	v_add_f16_e32 v28, v31, v32
	v_add_f16_e32 v29, v33, v41
	;; [unrolled: 1-line block ×3, first 2 shown]
	v_fma_f16 v31, -0.5, v36, v22
	v_add_f16_e32 v17, v83, v17
	v_fma_f16 v36, -0.5, v85, v13
	v_add_f16_e32 v40, v94, v43
	v_fma_f16 v41, -0.5, v95, v34
	v_sub_f16_e32 v81, v80, v84
	v_sub_f16_e32 v88, v43, v82
	v_fmac_f16_e32 v13, -0.5, v91
	v_fmac_f16_e32 v34, -0.5, v99
	v_sub_f16_e32 v90, v21, v19
	v_sub_f16_e32 v93, v19, v21
	;; [unrolled: 1-line block ×5, first 2 shown]
	v_fmac_f16_e32 v22, -0.5, v44
	v_add_f16_e32 v17, v17, v19
	v_fmamk_f16 v19, v87, 0x3b9c, v36
	v_add_f16_e32 v40, v40, v82
	v_fmamk_f16 v82, v15, 0xbb9c, v41
	v_sub_f16_e32 v39, v43, v39
	v_add_f16_e32 v32, v37, v81
	v_fmamk_f16 v81, v88, 0xbb9c, v13
	v_fmac_f16_e32 v13, 0x3b9c, v88
	v_fmamk_f16 v83, v96, 0x3b9c, v34
	v_fmac_f16_e32 v34, 0xbb9c, v96
	v_sub_f16_e32 v14, v14, v20
	v_fmac_f16_e32 v36, 0xbb9c, v87
	v_fmac_f16_e32 v41, 0x3b9c, v15
	v_add_f16_e32 v33, v89, v90
	v_add_f16_e32 v42, v97, v98
	;; [unrolled: 1-line block ×4, first 2 shown]
	v_fmamk_f16 v80, v38, 0x3b9c, v22
	v_fmac_f16_e32 v22, 0xbb9c, v38
	v_fmac_f16_e32 v19, 0x38b4, v88
	;; [unrolled: 1-line block ×3, first 2 shown]
	v_add_f16_e32 v37, v92, v93
	v_add_f16_e32 v39, v39, v100
	v_fmamk_f16 v18, v26, 0x3b9c, v25
	v_fmac_f16_e32 v25, 0xbb9c, v26
	v_fmamk_f16 v43, v27, 0xbb9c, v12
	v_fmac_f16_e32 v12, 0x3b9c, v27
	v_fmac_f16_e32 v81, 0x38b4, v87
	;; [unrolled: 1-line block ×5, first 2 shown]
	v_fmamk_f16 v44, v14, 0xbb9c, v31
	v_fmac_f16_e32 v31, 0x3b9c, v14
	v_fmac_f16_e32 v36, 0xb8b4, v88
	;; [unrolled: 1-line block ×3, first 2 shown]
	v_add_f16_e32 v16, v16, v20
	v_add_f16_e32 v20, v29, v84
	v_fmac_f16_e32 v80, 0xb8b4, v14
	v_fmac_f16_e32 v22, 0x38b4, v14
	v_add_f16_e32 v14, v17, v21
	v_add_f16_e32 v17, v40, v86
	v_fmac_f16_e32 v19, 0x34f2, v33
	v_fmac_f16_e32 v82, 0x34f2, v42
	;; [unrolled: 1-line block ×14, first 2 shown]
	v_add_f16_e32 v15, v16, v14
	v_add_f16_e32 v21, v20, v17
	v_sub_f16_e32 v14, v16, v14
	v_sub_f16_e32 v16, v20, v17
	v_mul_f16_e32 v17, 0x38b4, v82
	v_mul_f16_e32 v27, 0xb8b4, v19
	v_fmac_f16_e32 v18, 0x34f2, v23
	v_fmac_f16_e32 v25, 0x34f2, v23
	;; [unrolled: 1-line block ×4, first 2 shown]
	v_mul_f16_e32 v20, 0x3b9c, v83
	v_mul_f16_e32 v23, 0x34f2, v13
	;; [unrolled: 1-line block ×4, first 2 shown]
	v_fmac_f16_e32 v44, 0x34f2, v30
	v_fmac_f16_e32 v31, 0x34f2, v30
	v_mul_f16_e32 v26, 0x3a79, v36
	v_mul_f16_e32 v30, 0x3a79, v41
	v_fmac_f16_e32 v17, 0x3a79, v19
	v_fmac_f16_e32 v27, 0x3a79, v82
	;; [unrolled: 1-line block ×4, first 2 shown]
	v_pack_b32_f16 v14, v14, v16
	v_fmac_f16_e32 v20, 0x34f2, v81
	v_fma_f16 v16, v34, 0x3b9c, -v23
	v_fmac_f16_e32 v28, 0x34f2, v83
	v_fma_f16 v13, v13, 0xbb9c, -v29
	v_pack_b32_f16 v15, v15, v21
	v_fma_f16 v19, v41, 0x38b4, -v26
	v_fma_f16 v21, v36, 0xb8b4, -v30
	v_add_f16_e32 v23, v18, v17
	v_add_f16_e32 v32, v44, v27
	;; [unrolled: 1-line block ×8, first 2 shown]
	v_sub_f16_e32 v17, v18, v17
	v_sub_f16_e32 v18, v43, v20
	v_sub_f16_e32 v12, v12, v16
	v_sub_f16_e32 v36, v25, v19
	v_sub_f16_e32 v16, v44, v27
	v_sub_f16_e32 v19, v80, v28
	v_sub_f16_e32 v13, v22, v13
	v_sub_f16_e32 v37, v31, v21
	v_pack_b32_f16 v20, v23, v32
	v_pack_b32_f16 v21, v26, v33
	;; [unrolled: 1-line block ×8, first 2 shown]
	ds_store_2addr_b32 v68, v15, v20 offset1:5
	ds_store_2addr_b32 v68, v21, v22 offset0:10 offset1:15
	ds_store_2addr_b32 v68, v23, v14 offset0:20 offset1:25
	;; [unrolled: 1-line block ×4, first 2 shown]
	global_wb scope:SCOPE_SE
	s_wait_dscnt 0x0
	s_barrier_signal -1
	s_barrier_wait -1
	global_inv scope:SCOPE_SE
	ds_load_2addr_b32 v[19:20], v59 offset1:135
	ds_load_2addr_b32 v[17:18], v11 offset0:14 offset1:194
	ds_load_2addr_b32 v[25:26], v24 offset0:4 offset1:139
	;; [unrolled: 1-line block ×3, first 2 shown]
	ds_load_b32 v27, v59 offset:4680
                                        ; implicit-def: $vgpr28
                                        ; implicit-def: $vgpr30
                                        ; implicit-def: $vgpr29
                                        ; implicit-def: $vgpr31
	s_and_saveexec_b32 s0, vcc_lo
	s_cbranch_execz .LBB0_3
; %bb.2:
	ds_load_b32 v36, v59 offset:1620
	ds_load_b32 v28, v59 offset:3420
	;; [unrolled: 1-line block ×3, first 2 shown]
	s_wait_dscnt 0x2
	v_lshrrev_b32_e32 v37, 16, v36
	s_wait_dscnt 0x1
	v_lshrrev_b32_e32 v30, 16, v28
	;; [unrolled: 2-line block ×3, first 2 shown]
.LBB0_3:
	s_wait_alu 0xfffe
	s_or_b32 exec_lo, exec_lo, s0
	v_lshrrev_b16 v10, 1, v103
	v_add_co_u32 v21, s0, 0x10e, v57
	v_and_b32_e32 v9, 0xff, v57
	s_wait_alu 0xf1ff
	v_add_co_ci_u32_e64 v22, null, 0, 0, s0
	v_and_b32_e32 v10, 0xffff, v10
	v_add_co_u32 v104, s0, 0x195, v57
	v_mul_lo_u16 v9, v9, 41
	v_lshrrev_b16 v11, 1, v21
	s_delay_alu instid0(VALU_DEP_4) | instskip(NEXT) | instid1(VALU_DEP_4)
	v_mul_u32_u24_e32 v10, 0x147b, v10
	v_lshrrev_b16 v12, 1, v104
	s_wait_alu 0xf1ff
	v_add_co_ci_u32_e64 v105, null, 0, 0, s0
	v_lshrrev_b16 v34, 11, v9
	v_and_b32_e32 v39, 0xffff, v11
	v_lshrrev_b32_e32 v40, 17, v10
	v_and_b32_e32 v38, 0xffff, v12
	s_wait_dscnt 0x2
	v_lshrrev_b32_e32 v84, 16, v25
	v_mul_lo_u16 v9, v34, 50
	v_mul_u32_u24_e32 v10, 0x147b, v39
	v_mul_lo_u16 v12, v40, 50
	v_mul_u32_u24_e32 v11, 0x147b, v38
	v_and_b32_e32 v34, 0xffff, v34
	v_sub_nc_u16 v9, v57, v9
	v_lshrrev_b32_e32 v41, 17, v10
	v_sub_nc_u16 v42, v103, v12
	v_lshrrev_b32_e32 v10, 17, v11
	v_mul_u32_u24_e32 v34, 0x96, v34
	v_and_b32_e32 v43, 0xff, v9
	v_mul_lo_u16 v9, v41, 50
	v_lshlrev_b16 v11, 3, v42
	v_mul_lo_u16 v10, v10, 50
	v_mad_u16 v40, 0x96, v40, v42
	v_lshlrev_b32_e32 v12, 3, v43
	v_sub_nc_u16 v44, v21, v9
	v_and_b32_e32 v9, 0xffff, v11
	v_sub_nc_u16 v80, v104, v10
	v_and_b32_e32 v40, 0xffff, v40
	global_load_b64 v[15:16], v12, s[10:11] offset:180
	v_lshlrev_b16 v11, 3, v44
	v_add_co_u32 v9, s0, s10, v9
	s_wait_alu 0xf1ff
	v_add_co_ci_u32_e64 v10, null, s11, 0, s0
	s_delay_alu instid0(VALU_DEP_3)
	v_and_b32_e32 v11, 0xffff, v11
	v_mad_u16 v41, 0x96, v41, v44
	v_add_lshl_u32 v81, v34, v43, 2
	global_load_b64 v[13:14], v[9:10], off offset:180
	v_lshlrev_b16 v12, 3, v80
	v_add_co_u32 v9, s0, s10, v11
	s_wait_alu 0xf1ff
	v_add_co_ci_u32_e64 v10, null, s11, 0, s0
	s_delay_alu instid0(VALU_DEP_3)
	v_and_b32_e32 v12, 0xffff, v12
	v_and_b32_e32 v41, 0xffff, v41
	v_lshlrev_b32_e32 v83, 2, v40
	s_wait_dscnt 0x1
	v_lshrrev_b32_e32 v86, 16, v23
	v_lshrrev_b32_e32 v95, 16, v26
	v_add_co_u32 v32, s0, s10, v12
	s_wait_alu 0xf1ff
	v_add_co_ci_u32_e64 v33, null, s11, 0, s0
	s_clause 0x1
	global_load_b64 v[11:12], v[9:10], off offset:180
	global_load_b64 v[9:10], v[32:33], off offset:180
	v_lshrrev_b32_e32 v33, 16, v18
	v_lshrrev_b32_e32 v32, 16, v19
	v_lshlrev_b32_e32 v82, 2, v41
	v_lshrrev_b32_e32 v44, 16, v24
	s_wait_dscnt 0x0
	v_lshrrev_b32_e32 v96, 16, v27
	v_lshrrev_b32_e32 v85, 16, v20
	;; [unrolled: 1-line block ×3, first 2 shown]
	global_wb scope:SCOPE_SE
	s_wait_loadcnt 0x0
	s_barrier_signal -1
	s_barrier_wait -1
	global_inv scope:SCOPE_SE
	v_and_b32_e32 v80, 0xffff, v80
	v_lshrrev_b32_e32 v94, 16, v15
	v_lshrrev_b32_e32 v92, 16, v16
	s_delay_alu instid0(VALU_DEP_2) | instskip(NEXT) | instid1(VALU_DEP_2)
	v_mul_f16_e32 v40, v18, v94
	v_mul_f16_e32 v43, v25, v92
	;; [unrolled: 1-line block ×4, first 2 shown]
	v_lshrrev_b32_e32 v93, 16, v13
	v_fmac_f16_e32 v40, v33, v15
	v_lshrrev_b32_e32 v90, 16, v14
	v_fmac_f16_e32 v43, v84, v16
	v_fma_f16 v18, v18, v15, -v34
	v_fma_f16 v25, v25, v16, -v41
	v_mul_f16_e32 v33, v86, v93
	v_mul_f16_e32 v34, v23, v93
	;; [unrolled: 1-line block ×4, first 2 shown]
	v_sub_f16_e32 v99, v40, v43
	v_add_f16_e32 v100, v32, v40
	v_add_f16_e32 v40, v40, v43
	;; [unrolled: 1-line block ×4, first 2 shown]
	v_sub_f16_e32 v18, v18, v25
	v_lshrrev_b32_e32 v91, 16, v11
	v_lshrrev_b32_e32 v89, 16, v12
	;; [unrolled: 1-line block ×4, first 2 shown]
	v_fma_f16 v23, v23, v13, -v33
	v_fmac_f16_e32 v34, v86, v13
	v_fma_f16 v26, v26, v14, -v41
	v_fmac_f16_e32 v84, v95, v14
	v_mul_f16_e32 v33, v44, v91
	v_mul_f16_e32 v41, v24, v91
	;; [unrolled: 1-line block ×5, first 2 shown]
	v_fmac_f16_e32 v32, -0.5, v40
	v_mul_f16_e32 v101, v30, v88
	v_mul_f16_e32 v102, v28, v88
	;; [unrolled: 1-line block ×3, first 2 shown]
	v_add_f16_e32 v25, v97, v25
	v_fma_f16 v19, -0.5, v98, v19
	v_add_f16_e32 v43, v100, v43
	v_fma_f16 v24, v24, v11, -v33
	v_fmac_f16_e32 v41, v44, v11
	v_fma_f16 v27, v27, v12, -v86
	v_fmac_f16_e32 v95, v96, v12
	v_fmac_f16_e32 v107, v31, v10
	v_fmamk_f16 v31, v18, 0xbaee, v32
	v_fmac_f16_e32 v32, 0x3aee, v18
	v_add_f16_e32 v18, v20, v23
	v_sub_f16_e32 v40, v34, v84
	v_add_f16_e32 v44, v85, v34
	v_add_f16_e32 v34, v34, v84
	v_fma_f16 v28, v28, v9, -v101
	v_fmac_f16_e32 v102, v30, v9
	v_fma_f16 v29, v29, v10, -v106
	v_add_f16_e32 v33, v23, v26
	v_fmamk_f16 v30, v99, 0x3aee, v19
	v_sub_f16_e32 v23, v23, v26
	v_pack_b32_f16 v25, v25, v43
	v_add_f16_e32 v18, v18, v26
	v_add_f16_e32 v26, v44, v84
	v_fmac_f16_e32 v85, -0.5, v34
	v_add_f16_e32 v34, v24, v27
	v_sub_f16_e32 v43, v41, v95
	v_add_f16_e32 v44, v42, v41
	v_add_f16_e32 v41, v41, v95
	v_fmac_f16_e32 v19, 0xbaee, v99
	v_fmac_f16_e32 v20, -0.5, v33
	v_add_f16_e32 v86, v28, v29
	v_add_f16_e32 v98, v102, v107
	;; [unrolled: 1-line block ×3, first 2 shown]
	v_sub_f16_e32 v24, v24, v27
	v_pack_b32_f16 v30, v30, v31
	v_fmac_f16_e32 v17, -0.5, v34
	v_fmac_f16_e32 v42, -0.5, v41
	v_pack_b32_f16 v19, v19, v32
	v_add_f16_e32 v84, v36, v28
	v_sub_f16_e32 v96, v102, v107
	v_add_f16_e32 v97, v37, v102
	v_sub_f16_e32 v28, v28, v29
	v_fmamk_f16 v31, v40, 0x3aee, v20
	v_fmamk_f16 v32, v23, 0xbaee, v85
	v_fmac_f16_e32 v36, -0.5, v86
	v_fmac_f16_e32 v37, -0.5, v98
	v_fmac_f16_e32 v20, 0xbaee, v40
	v_fmac_f16_e32 v85, 0x3aee, v23
	v_add_f16_e32 v23, v33, v27
	v_add_f16_e32 v27, v44, v95
	ds_store_2addr_b32 v81, v25, v30 offset1:50
	ds_store_b32 v81, v19 offset:400
	v_fmamk_f16 v19, v43, 0x3aee, v17
	v_fmamk_f16 v25, v24, 0xbaee, v42
	v_fmac_f16_e32 v17, 0xbaee, v43
	v_fmac_f16_e32 v42, 0x3aee, v24
	v_add_f16_e32 v106, v84, v29
	v_add_f16_e32 v107, v97, v107
	v_pack_b32_f16 v18, v18, v26
	v_fmamk_f16 v40, v96, 0x3aee, v36
	v_fmac_f16_e32 v36, 0xbaee, v96
	v_fmamk_f16 v41, v28, 0xbaee, v37
	v_pack_b32_f16 v24, v31, v32
	v_fmac_f16_e32 v37, 0x3aee, v28
	v_pack_b32_f16 v20, v20, v85
	v_pack_b32_f16 v23, v23, v27
	;; [unrolled: 1-line block ×4, first 2 shown]
	ds_store_2addr_b32 v83, v18, v24 offset1:50
	ds_store_b32 v83, v20 offset:400
	ds_store_2addr_b32 v82, v23, v19 offset1:50
	ds_store_b32 v82, v17 offset:400
	s_and_saveexec_b32 s0, vcc_lo
	s_cbranch_execz .LBB0_5
; %bb.4:
	v_lshlrev_b32_e32 v17, 2, v80
	v_perm_b32 v18, v107, v106, 0x5040100
	v_perm_b32 v19, v41, v40, 0x5040100
	v_perm_b32 v23, v37, v36, 0x5040100
	s_delay_alu instid0(VALU_DEP_4)
	v_add_nc_u32_e32 v20, 0x1000, v17
	ds_store_2addr_b32 v20, v18, v19 offset0:176 offset1:226
	ds_store_b32 v17, v23 offset:5200
.LBB0_5:
	s_wait_alu 0xfffe
	s_or_b32 exec_lo, exec_lo, s0
	v_add_nc_u32_e32 v17, 0x400, v59
	v_add_nc_u32_e32 v18, 0xe00, v59
	;; [unrolled: 1-line block ×3, first 2 shown]
	global_wb scope:SCOPE_SE
	s_wait_dscnt 0x0
	s_barrier_signal -1
	s_barrier_wait -1
	global_inv scope:SCOPE_SE
	ds_load_2addr_b32 v[29:30], v59 offset1:135
	ds_load_2addr_b32 v[27:28], v17 offset0:14 offset1:194
	ds_load_2addr_b32 v[33:34], v18 offset0:4 offset1:139
	;; [unrolled: 1-line block ×3, first 2 shown]
	ds_load_b32 v42, v59 offset:4680
	s_and_saveexec_b32 s0, vcc_lo
	s_cbranch_execz .LBB0_7
; %bb.6:
	ds_load_b32 v106, v59 offset:1620
	ds_load_b32 v40, v59 offset:3420
	;; [unrolled: 1-line block ×3, first 2 shown]
	s_wait_dscnt 0x2
	v_lshrrev_b32_e32 v107, 16, v106
	s_wait_dscnt 0x1
	v_lshrrev_b32_e32 v41, 16, v40
	;; [unrolled: 2-line block ×3, first 2 shown]
.LBB0_7:
	s_wait_alu 0xfffe
	s_or_b32 exec_lo, exec_lo, s0
	v_add_co_u32 v19, s0, v57, -15
	s_wait_alu 0xf1ff
	v_add_co_ci_u32_e64 v20, null, 0, -1, s0
	v_cmp_gt_u16_e64 s0, 15, v57
	v_mul_u32_u24_e32 v23, 0xda75, v39
	v_lshlrev_b32_e32 v84, 3, v57
	s_wait_dscnt 0x3
	v_lshrrev_b32_e32 v97, 16, v28
	s_wait_dscnt 0x2
	v_lshrrev_b32_e32 v98, 16, v33
	s_wait_alu 0xf1ff
	v_cndmask_b32_e64 v39, v20, v35, s0
	v_mul_u32_u24_e32 v20, 0xda75, v38
	v_cndmask_b32_e64 v38, v19, v103, s0
	v_lshrrev_b32_e32 v35, 22, v23
	global_load_b64 v[17:18], v84, s[10:11] offset:580
	v_lshrrev_b32_e32 v108, 16, v29
	v_lshrrev_b32_e32 v23, 22, v20
	v_lshlrev_b64_e32 v[19:20], 3, v[38:39]
	v_mul_lo_u16 v24, 0x96, v35
	s_wait_dscnt 0x1
	v_lshrrev_b32_e32 v100, 16, v31
	v_lshrrev_b32_e32 v102, 16, v34
	v_mul_lo_u16 v23, 0x96, v23
	v_lshrrev_b32_e32 v109, 16, v30
	v_sub_nc_u16 v39, v21, v24
	v_add_co_u32 v19, s0, s10, v19
	s_wait_alu 0xf1ff
	v_add_co_ci_u32_e64 v20, s0, s11, v20, s0
	v_sub_nc_u16 v86, v104, v23
	v_lshlrev_b16 v23, 3, v39
	v_mad_u16 v35, 0x1c2, v35, v39
	global_load_b64 v[25:26], v[19:20], off offset:580
	v_lshrrev_b32_e32 v110, 16, v32
	v_lshlrev_b16 v19, 3, v86
	v_and_b32_e32 v20, 0xffff, v23
	v_and_b32_e32 v35, 0xffff, v35
	s_wait_dscnt 0x0
	v_lshrrev_b32_e32 v111, 16, v42
	v_lshrrev_b32_e32 v112, 16, v27
	v_and_b32_e32 v23, 0xffff, v19
	v_add_co_u32 v19, s0, s10, v20
	s_wait_alu 0xf1ff
	v_add_co_ci_u32_e64 v20, null, s11, 0, s0
	s_delay_alu instid0(VALU_DEP_3)
	v_add_co_u32 v43, s0, s10, v23
	s_wait_alu 0xf1ff
	v_add_co_ci_u32_e64 v44, null, s11, 0, s0
	s_clause 0x1
	global_load_b64 v[23:24], v[19:20], off offset:580
	global_load_b64 v[19:20], v[43:44], off offset:580
	v_cmp_lt_u16_e64 s0, 14, v57
	global_wb scope:SCOPE_SE
	s_wait_loadcnt 0x0
	s_barrier_signal -1
	s_barrier_wait -1
	global_inv scope:SCOPE_SE
	s_wait_alu 0xf1ff
	v_cndmask_b32_e64 v85, 0, 0x1c2, s0
	v_add_co_u32 v43, s0, s10, v84
	v_and_b32_e32 v84, 0xffff, v86
	v_lshlrev_b32_e32 v86, 2, v35
	s_delay_alu instid0(VALU_DEP_4) | instskip(SKIP_4) | instid1(VALU_DEP_2)
	v_add_lshl_u32 v85, v38, v85, 2
	s_wait_alu 0xf1ff
	v_add_co_ci_u32_e64 v44, null, s11, 0, s0
	v_lshrrev_b32_e32 v95, 16, v17
	v_lshrrev_b32_e32 v96, 16, v18
	v_mul_f16_e32 v35, v97, v95
	v_mul_f16_e32 v38, v28, v95
	s_delay_alu instid0(VALU_DEP_3) | instskip(SKIP_1) | instid1(VALU_DEP_4)
	v_mul_f16_e32 v39, v98, v96
	v_mul_f16_e32 v113, v33, v96
	v_fma_f16 v28, v28, v17, -v35
	s_delay_alu instid0(VALU_DEP_4) | instskip(NEXT) | instid1(VALU_DEP_4)
	v_fmac_f16_e32 v38, v97, v17
	v_fma_f16 v33, v33, v18, -v39
	s_delay_alu instid0(VALU_DEP_4) | instskip(NEXT) | instid1(VALU_DEP_4)
	v_fmac_f16_e32 v113, v98, v18
	v_add_f16_e32 v35, v29, v28
	s_delay_alu instid0(VALU_DEP_4) | instskip(NEXT) | instid1(VALU_DEP_4)
	v_add_f16_e32 v98, v108, v38
	v_add_f16_e32 v39, v28, v33
	s_delay_alu instid0(VALU_DEP_4)
	v_sub_f16_e32 v97, v38, v113
	v_add_f16_e32 v38, v38, v113
	v_lshrrev_b32_e32 v101, 16, v25
	v_lshrrev_b32_e32 v99, 16, v26
	v_sub_f16_e32 v28, v28, v33
	v_add_f16_e32 v33, v35, v33
	v_fma_f16 v29, -0.5, v39, v29
	v_add_f16_e32 v35, v98, v113
	v_fmac_f16_e32 v108, -0.5, v38
	v_mul_f16_e32 v38, v100, v101
	v_mul_f16_e32 v39, v31, v101
	;; [unrolled: 1-line block ×4, first 2 shown]
	v_fmamk_f16 v114, v97, 0x3aee, v29
	v_fmac_f16_e32 v29, 0xbaee, v97
	v_fmamk_f16 v115, v28, 0xbaee, v108
	v_fmac_f16_e32 v108, 0x3aee, v28
	v_fma_f16 v31, v31, v25, -v38
	v_fmac_f16_e32 v39, v100, v25
	v_fmac_f16_e32 v113, v102, v26
	v_lshrrev_b32_e32 v102, 16, v23
	v_lshrrev_b32_e32 v100, 16, v24
	v_pack_b32_f16 v28, v33, v35
	v_fma_f16 v33, v34, v26, -v98
	v_lshrrev_b32_e32 v98, 16, v19
	v_lshrrev_b32_e32 v97, 16, v20
	v_pack_b32_f16 v34, v114, v115
	v_pack_b32_f16 v29, v29, v108
	v_add_f16_e32 v35, v30, v31
	v_sub_f16_e32 v108, v39, v113
	v_add_f16_e32 v114, v109, v39
	v_add_f16_e32 v39, v39, v113
	v_mul_f16_e32 v115, v110, v102
	v_mul_f16_e32 v116, v32, v102
	;; [unrolled: 1-line block ×8, first 2 shown]
	v_add_f16_e32 v38, v31, v33
	v_sub_f16_e32 v31, v31, v33
	ds_store_2addr_b32 v59, v28, v34 offset1:150
	ds_store_b32 v59, v29 offset:1200
	v_add_f16_e32 v28, v35, v33
	v_fmac_f16_e32 v109, -0.5, v39
	v_fma_f16 v32, v32, v23, -v115
	v_fmac_f16_e32 v116, v110, v23
	v_fma_f16 v33, v42, v24, -v117
	v_fmac_f16_e32 v118, v111, v24
	;; [unrolled: 2-line block ×4, first 2 shown]
	v_fmac_f16_e32 v30, -0.5, v38
	v_add_f16_e32 v29, v114, v113
	v_fmamk_f16 v37, v31, 0xbaee, v109
	v_fmac_f16_e32 v109, 0x3aee, v31
	v_add_f16_e32 v31, v32, v33
	v_add_f16_e32 v40, v116, v118
	;; [unrolled: 1-line block ×4, first 2 shown]
	v_fmamk_f16 v36, v108, 0x3aee, v30
	v_fmac_f16_e32 v30, 0xbaee, v108
	v_pack_b32_f16 v28, v28, v29
	v_add_f16_e32 v29, v27, v32
	v_sub_f16_e32 v38, v116, v118
	v_add_f16_e32 v39, v112, v116
	v_sub_f16_e32 v32, v32, v33
	v_add_f16_e32 v41, v106, v34
	v_fmac_f16_e32 v27, -0.5, v31
	v_fmac_f16_e32 v112, -0.5, v40
	v_sub_f16_e32 v108, v120, v122
	v_add_f16_e32 v110, v107, v120
	v_sub_f16_e32 v34, v34, v35
	v_fmac_f16_e32 v106, -0.5, v42
	v_fmac_f16_e32 v107, -0.5, v111
	v_pack_b32_f16 v30, v30, v109
	v_add_f16_e32 v29, v29, v33
	v_add_f16_e32 v31, v39, v118
	;; [unrolled: 1-line block ×3, first 2 shown]
	v_fmamk_f16 v33, v38, 0x3aee, v27
	v_fmamk_f16 v35, v32, 0xbaee, v112
	v_fmac_f16_e32 v27, 0xbaee, v38
	v_fmac_f16_e32 v112, 0x3aee, v32
	v_pack_b32_f16 v36, v36, v37
	v_add_f16_e32 v110, v110, v122
	v_fmamk_f16 v111, v108, 0x3aee, v106
	v_fmac_f16_e32 v106, 0xbaee, v108
	v_fmamk_f16 v113, v34, 0xbaee, v107
	v_fmac_f16_e32 v107, 0x3aee, v34
	v_pack_b32_f16 v29, v29, v31
	v_pack_b32_f16 v31, v33, v35
	;; [unrolled: 1-line block ×3, first 2 shown]
	ds_store_2addr_b32 v85, v28, v36 offset1:150
	ds_store_b32 v85, v30 offset:1200
	ds_store_2addr_b32 v86, v29, v31 offset1:150
	ds_store_b32 v86, v27 offset:1200
	s_and_saveexec_b32 s0, vcc_lo
	s_cbranch_execz .LBB0_9
; %bb.8:
	v_lshlrev_b32_e32 v27, 2, v84
	v_perm_b32 v28, v110, v109, 0x5040100
	v_perm_b32 v29, v113, v111, 0x5040100
	v_perm_b32 v31, v107, v106, 0x5040100
	s_delay_alu instid0(VALU_DEP_4)
	v_add_nc_u32_e32 v30, 0xe00, v27
	ds_store_2addr_b32 v30, v28, v29 offset0:4 offset1:154
	ds_store_b32 v27, v31 offset:4800
.LBB0_9:
	s_wait_alu 0xfffe
	s_or_b32 exec_lo, exec_lo, s0
	v_add_nc_u32_e32 v27, 0x400, v59
	v_add_nc_u32_e32 v28, 0xe00, v59
	;; [unrolled: 1-line block ×3, first 2 shown]
	global_wb scope:SCOPE_SE
	s_wait_dscnt 0x0
	s_barrier_signal -1
	s_barrier_wait -1
	global_inv scope:SCOPE_SE
	ds_load_2addr_b32 v[37:38], v59 offset1:135
	ds_load_2addr_b32 v[35:36], v27 offset0:14 offset1:194
	ds_load_2addr_b32 v[41:42], v28 offset0:4 offset1:139
	;; [unrolled: 1-line block ×3, first 2 shown]
	ds_load_b32 v114, v59 offset:4680
	v_add_co_u32 v33, s0, s8, v59
	s_wait_alu 0xf1ff
	v_add_co_ci_u32_e64 v34, null, s9, 0, s0
	s_and_saveexec_b32 s0, vcc_lo
	s_cbranch_execz .LBB0_11
; %bb.10:
	ds_load_b32 v109, v59 offset:1620
	ds_load_b32 v111, v59 offset:3420
	;; [unrolled: 1-line block ×3, first 2 shown]
	s_wait_dscnt 0x2
	v_lshrrev_b32_e32 v110, 16, v109
	s_wait_dscnt 0x1
	v_lshrrev_b32_e32 v113, 16, v111
	;; [unrolled: 2-line block ×3, first 2 shown]
.LBB0_11:
	s_wait_alu 0xfffe
	s_or_b32 exec_lo, exec_lo, s0
	v_lshlrev_b64_e32 v[21:22], 3, v[21:22]
	v_lshlrev_b32_e32 v29, 3, v103
	global_load_b64 v[27:28], v[43:44], off offset:1780
	s_wait_dscnt 0x2
	v_lshrrev_b32_e32 v116, 16, v41
	s_wait_dscnt 0x1
	v_lshrrev_b32_e32 v118, 16, v39
	v_lshrrev_b32_e32 v119, 16, v42
	global_load_b64 v[31:32], v29, s[10:11] offset:1780
	v_add_co_u32 v21, s0, s10, v21
	s_wait_alu 0xf1ff
	v_add_co_ci_u32_e64 v22, s0, s11, v22, s0
	v_lshrrev_b32_e32 v115, 16, v37
	v_lshrrev_b32_e32 v121, 16, v40
	;; [unrolled: 1-line block ×3, first 2 shown]
	global_load_b64 v[29:30], v[21:22], off offset:1780
	v_add_co_u32 v21, s0, 0xffffffd3, v57
	s_wait_alu 0xf1ff
	v_add_co_ci_u32_e64 v22, null, 0, -1, s0
	s_delay_alu instid0(VALU_DEP_2) | instskip(SKIP_1) | instid1(VALU_DEP_3)
	v_dual_cndmask_b32 v21, v21, v104 :: v_dual_add_nc_u32 v108, 0x1000, v59
	v_lshrrev_b32_e32 v104, 16, v36
	v_cndmask_b32_e32 v22, v22, v105, vcc_lo
	s_wait_dscnt 0x0
	v_lshrrev_b32_e32 v122, 16, v114
	v_lshrrev_b32_e32 v120, 16, v35
	s_delay_alu instid0(VALU_DEP_3) | instskip(NEXT) | instid1(VALU_DEP_1)
	v_lshlrev_b64_e32 v[21:22], 3, v[21:22]
	v_add_co_u32 v21, s0, s10, v21
	s_wait_alu 0xf1ff
	s_delay_alu instid0(VALU_DEP_2)
	v_add_co_ci_u32_e64 v22, s0, s11, v22, s0
	global_load_b64 v[21:22], v[21:22], off offset:1780
	s_wait_loadcnt 0x3
	v_lshrrev_b32_e32 v44, 16, v27
	v_lshrrev_b32_e32 v43, 16, v28
	s_wait_loadcnt 0x2
	v_lshrrev_b32_e32 v105, 16, v31
	s_delay_alu instid0(VALU_DEP_3)
	v_mul_f16_e32 v123, v104, v44
	v_mul_f16_e32 v124, v36, v44
	;; [unrolled: 1-line block ×4, first 2 shown]
	v_lshrrev_b32_e32 v103, 16, v32
	v_fma_f16 v36, v36, v27, -v123
	v_fmac_f16_e32 v124, v104, v27
	v_fma_f16 v123, v41, v28, -v125
	v_fmac_f16_e32 v126, v116, v28
	v_mul_f16_e32 v116, v118, v105
	v_mul_f16_e32 v125, v39, v105
	;; [unrolled: 1-line block ×3, first 2 shown]
	v_mul_f16_e64 v128, v42, v103
	s_wait_loadcnt 0x1
	v_lshrrev_b32_e32 v104, 16, v29
	v_lshrrev_b32_e32 v41, 16, v30
	v_fma_f16 v39, v39, v31, -v116
	v_fmac_f16_e32 v125, v118, v31
	v_fma_f16 v42, v42, v32, -v127
	v_fmac_f16_e64 v128, v119, v32
	v_add_f16_e32 v116, v37, v36
	v_add_f16_e32 v118, v36, v123
	v_sub_f16_e32 v119, v124, v126
	v_add_f16_e32 v127, v115, v124
	v_add_f16_e32 v124, v124, v126
	v_sub_f16_e64 v129, v36, v123
	v_mul_f16_e32 v36, v121, v104
	v_mul_f16_e64 v130, v40, v104
	v_mul_f16_e64 v132, v114, v41
	;; [unrolled: 1-line block ×3, first 2 shown]
	v_add_f16_e32 v116, v116, v123
	v_fma_f16 v118, -0.5, v118, v37
	v_add_f16_e32 v123, v127, v126
	v_fmac_f16_e32 v115, -0.5, v124
	v_add_f16_e32 v124, v38, v39
	v_add_f16_e32 v126, v39, v42
	v_sub_f16_e64 v127, v125, v128
	v_add_f16_e64 v133, v117, v125
	v_add_f16_e64 v125, v125, v128
	v_fma_f16 v40, v40, v29, -v36
	v_fmac_f16_e64 v130, v121, v29
	v_fmac_f16_e64 v132, v122, v30
	s_wait_loadcnt 0x0
	v_lshrrev_b32_e32 v37, 16, v21
	v_lshrrev_b32_e32 v36, 16, v22
	v_sub_f16_e32 v39, v39, v42
	v_fma_f16 v121, v114, v30, -v131
	v_add_f16_e32 v124, v124, v42
	v_fmac_f16_e32 v38, -0.5, v126
	v_add_f16_e64 v126, v133, v128
	v_fmac_f16_e32 v117, -0.5, v125
	v_pack_b32_f16 v116, v116, v123
	v_mul_f16_e32 v123, v113, v37
	v_mul_f16_e32 v114, v111, v37
	;; [unrolled: 1-line block ×4, first 2 shown]
	v_sub_f16_e64 v131, v130, v132
	v_add_f16_e64 v133, v120, v130
	v_add_f16_e64 v130, v130, v132
	v_fmamk_f16 v122, v119, 0x3aee, v118
	v_fmac_f16_e32 v118, 0xbaee, v119
	v_fma_f16 v119, 0xbaee, v129, v115
	v_fmac_f16_e64 v115, 0x3aee, v129
	v_add_f16_e64 v128, v35, v40
	v_add_f16_e64 v129, v40, v121
	v_sub_f16_e32 v40, v40, v121
	v_fma_f16 v134, 0x3aee, v127, v38
	v_fmac_f16_e32 v38, 0xbaee, v127
	v_fmamk_f16 v127, v39, 0xbaee, v117
	v_fmac_f16_e32 v117, 0x3aee, v39
	v_fma_f16 v111, v111, v21, -v123
	v_fmac_f16_e32 v114, v113, v21
	v_fma_f16 v106, v106, v22, -v125
	v_fmac_f16_e32 v42, v107, v22
	v_fmac_f16_e64 v120, -0.5, v130
	v_pack_b32_f16 v119, v122, v119
	v_add_f16_e64 v39, v128, v121
	v_fmac_f16_e64 v35, -0.5, v129
	v_add_f16_e64 v107, v133, v132
	v_pack_b32_f16 v117, v38, v117
	v_fmamk_f16 v122, v40, 0xbaee, v120
	v_add_f16_e32 v38, v111, v106
	v_fmac_f16_e32 v120, 0x3aee, v40
	v_add_f16_e32 v40, v114, v42
	v_pack_b32_f16 v115, v118, v115
	v_pack_b32_f16 v118, v124, v126
	v_fma_f16 v121, 0x3aee, v131, v35
	v_fmac_f16_e64 v35, 0xbaee, v131
	v_sub_f16_e32 v123, v114, v42
	v_sub_f16_e32 v124, v111, v106
	v_fma_f16 v38, -0.5, v38, v109
	v_pack_b32_f16 v107, v39, v107
	v_fma_f16 v39, -0.5, v40, v110
	v_pack_b32_f16 v120, v35, v120
	v_pack_b32_f16 v113, v134, v127
	v_fmamk_f16 v35, v123, 0x3aee, v38
	v_fmac_f16_e32 v38, 0xbaee, v123
	v_fmamk_f16 v40, v124, 0xbaee, v39
	v_fmac_f16_e32 v39, 0x3aee, v124
	v_pack_b32_f16 v121, v121, v122
	ds_store_b32 v59, v119 offset:1800
	ds_store_b32 v59, v115 offset:3600
	ds_store_2addr_b32 v59, v116, v118 offset1:135
	ds_store_b32 v59, v107 offset:1080
	ds_store_2addr_b32 v112, v113, v121 offset0:73 offset1:208
	ds_store_2addr_b32 v108, v117, v120 offset0:11 offset1:146
	s_and_saveexec_b32 s0, vcc_lo
	s_cbranch_execz .LBB0_13
; %bb.12:
	v_add_f16_e32 v107, v110, v114
	v_add_f16_e32 v109, v109, v111
	s_delay_alu instid0(VALU_DEP_2) | instskip(NEXT) | instid1(VALU_DEP_2)
	v_add_f16_e32 v42, v107, v42
	v_add_f16_e32 v106, v109, v106
	v_perm_b32 v107, v39, v38, 0x5040100
	s_delay_alu instid0(VALU_DEP_2)
	v_pack_b32_f16 v42, v106, v42
	v_perm_b32 v106, v40, v35, 0x5040100
	ds_store_b32 v59, v42 offset:1620
	ds_store_b32 v59, v106 offset:3420
	;; [unrolled: 1-line block ×3, first 2 shown]
.LBB0_13:
	s_wait_alu 0xfffe
	s_or_b32 exec_lo, exec_lo, s0
	global_wb scope:SCOPE_SE
	s_wait_dscnt 0x0
	s_barrier_signal -1
	s_barrier_wait -1
	global_inv scope:SCOPE_SE
	global_load_b32 v33, v[33:34], off offset:5400
	v_lshlrev_b32_e32 v34, 2, v57
	s_add_nc_u64 s[0:1], s[8:9], 0x1518
	s_clause 0x8
	global_load_b32 v117, v34, s[0:1] offset:540
	global_load_b32 v118, v34, s[0:1] offset:1080
	;; [unrolled: 1-line block ×9, first 2 shown]
	ds_load_2addr_b32 v[106:107], v59 offset1:135
	v_add_nc_u32_e32 v126, 0xc00, v59
	v_add_nc_u32_e32 v127, 0x600, v59
	v_add_nc_u32_e32 v128, 0xa00, v59
	s_wait_dscnt 0x0
	v_lshrrev_b32_e32 v34, 16, v106
	v_lshrrev_b32_e32 v129, 16, v107
	s_wait_loadcnt 0x8
	v_lshrrev_b32_e32 v130, 16, v117
	s_wait_loadcnt 0x7
	v_lshrrev_b32_e32 v131, 16, v118
	v_lshrrev_b32_e32 v42, 16, v33
	s_wait_loadcnt 0x6
	v_lshrrev_b32_e32 v133, 16, v119
	s_wait_loadcnt 0x5
	v_lshrrev_b32_e32 v134, 16, v120
	v_mul_f16_e64 v132, v129, v130
	v_mul_f16_e64 v130, v107, v130
	v_mul_f16_e32 v109, v34, v42
	v_mul_f16_e32 v42, v106, v42
	s_wait_loadcnt 0x4
	v_lshrrev_b32_e32 v135, 16, v121
	v_fma_f16 v107, v107, v117, -v132
	v_fmac_f16_e64 v130, v129, v117
	v_fma_f16 v106, v106, v33, -v109
	v_fmac_f16_e32 v42, v34, v33
	v_add_nc_u32_e32 v34, 0x400, v59
	v_add_nc_u32_e32 v33, 0x800, v59
	v_pack_b32_f16 v107, v107, v130
	s_wait_loadcnt 0x3
	v_lshrrev_b32_e32 v117, 16, v122
	v_pack_b32_f16 v42, v106, v42
	s_wait_loadcnt 0x2
	v_lshrrev_b32_e32 v129, 16, v123
	s_wait_loadcnt 0x1
	v_lshrrev_b32_e32 v132, 16, v124
	;; [unrolled: 2-line block ×3, first 2 shown]
	v_add_nc_u32_e32 v106, 0x200, v59
	ds_store_b32 v59, v42
	ds_load_2addr_b32 v[109:110], v34 offset0:14 offset1:149
	ds_load_2addr_b32 v[111:112], v33 offset0:28 offset1:163
	;; [unrolled: 1-line block ×4, first 2 shown]
	v_add_nc_u32_e32 v42, 0xe00, v59
	s_wait_dscnt 0x3
	v_lshrrev_b32_e32 v130, 16, v109
	v_mul_f16_e64 v137, v109, v131
	s_wait_dscnt 0x2
	v_lshrrev_b32_e32 v138, 16, v111
	v_lshrrev_b32_e32 v144, 16, v110
	s_wait_dscnt 0x1
	v_lshrrev_b32_e32 v140, 16, v113
	v_lshrrev_b32_e32 v146, 16, v112
	;; [unrolled: 3-line block ×3, first 2 shown]
	v_lshrrev_b32_e32 v150, 16, v116
	v_mul_f16_e64 v131, v130, v131
	v_mul_f16_e64 v139, v111, v133
	;; [unrolled: 1-line block ×3, first 2 shown]
	v_fmac_f16_e64 v137, v130, v118
	v_mul_f16_e64 v130, v138, v133
	v_mul_f16_e64 v117, v144, v117
	;; [unrolled: 1-line block ×12, first 2 shown]
	v_fma_f16 v109, v109, v118, -v131
	v_fmac_f16_e64 v139, v138, v119
	v_fmac_f16_e64 v145, v144, v122
	v_fma_f16 v111, v111, v119, -v130
	v_fma_f16 v110, v110, v122, -v117
	v_fmac_f16_e64 v141, v140, v120
	v_fmac_f16_e64 v147, v146, v123
	v_fma_f16 v113, v113, v120, -v133
	;; [unrolled: 4-line block ×3, first 2 shown]
	v_fma_f16 v114, v114, v124, -v132
	v_fmac_f16_e64 v151, v150, v125
	v_fma_f16 v116, v116, v125, -v135
	v_pack_b32_f16 v109, v109, v137
	v_pack_b32_f16 v111, v111, v139
	;; [unrolled: 1-line block ×8, first 2 shown]
	ds_store_2addr_b32 v106, v107, v109 offset0:7 offset1:142
	ds_store_2addr_b32 v127, v110, v111 offset0:21 offset1:156
	;; [unrolled: 1-line block ×4, first 2 shown]
	ds_store_b32 v59, v116 offset:4860
	global_wb scope:SCOPE_SE
	s_wait_dscnt 0x0
	s_barrier_signal -1
	s_barrier_wait -1
	global_inv scope:SCOPE_SE
	ds_load_2addr_b32 v[106:107], v59 offset1:135
	ds_load_2addr_b32 v[109:110], v34 offset0:14 offset1:149
	ds_load_2addr_b32 v[111:112], v33 offset0:28 offset1:163
	;; [unrolled: 1-line block ×4, first 2 shown]
	global_wb scope:SCOPE_SE
	s_wait_dscnt 0x0
	s_barrier_signal -1
	s_barrier_wait -1
	global_inv scope:SCOPE_SE
	v_pk_add_f16 v117, v107, v110
	v_pk_add_f16 v118, v106, v109
	;; [unrolled: 1-line block ×3, first 2 shown]
	v_pk_add_f16 v120, v109, v115 neg_lo:[0,1] neg_hi:[0,1]
	v_pk_add_f16 v121, v111, v113 neg_lo:[0,1] neg_hi:[0,1]
	v_pk_add_f16 v124, v109, v115
	v_pk_add_f16 v122, v109, v111 neg_lo:[0,1] neg_hi:[0,1]
	v_pk_add_f16 v123, v115, v113 neg_lo:[0,1] neg_hi:[0,1]
	v_pk_add_f16 v127, v112, v114
	v_pk_add_f16 v128, v110, v116 neg_lo:[0,1] neg_hi:[0,1]
	v_pk_add_f16 v109, v111, v109 neg_lo:[0,1] neg_hi:[0,1]
	;; [unrolled: 1-line block ×4, first 2 shown]
	v_pk_add_f16 v132, v110, v116
	v_pk_add_f16 v130, v110, v112 neg_lo:[0,1] neg_hi:[0,1]
	v_pk_add_f16 v110, v112, v110 neg_lo:[0,1] neg_hi:[0,1]
	v_pk_add_f16 v112, v117, v112
	v_pk_add_f16 v111, v118, v111
	v_pk_fma_f16 v117, v119, 0.5, v106 op_sel_hi:[1,0,1] neg_lo:[1,0,0] neg_hi:[1,0,0]
	v_pk_mul_f16 v118, 0x3b9c, v120 op_sel_hi:[0,1]
	v_pk_mul_f16 v119, 0x38b4, v121 op_sel_hi:[0,1]
	v_pk_fma_f16 v106, v124, 0.5, v106 op_sel_hi:[1,0,1] neg_lo:[1,0,0] neg_hi:[1,0,0]
	v_pk_mul_f16 v121, 0x3b9c, v121 op_sel_hi:[0,1]
	v_pk_add_f16 v122, v122, v123
	v_pk_fma_f16 v123, v127, 0.5, v107 op_sel_hi:[1,0,1] neg_lo:[1,0,0] neg_hi:[1,0,0]
	v_pk_mul_f16 v124, 0x3b9c, v128 op_sel_hi:[0,1]
	v_pk_add_f16 v109, v109, v125
	v_pk_mul_f16 v125, 0x38b4, v129 op_sel_hi:[0,1]
	v_pk_fma_f16 v107, v132, 0.5, v107 op_sel_hi:[1,0,1] neg_lo:[1,0,0] neg_hi:[1,0,0]
	v_pk_mul_f16 v129, 0x3b9c, v129 op_sel_hi:[0,1]
	v_pk_add_f16 v131, v116, v114 neg_lo:[0,1] neg_hi:[0,1]
	v_pk_add_f16 v133, v114, v116 neg_lo:[0,1] neg_hi:[0,1]
	v_pk_add_f16 v112, v112, v114
	v_pk_add_f16 v111, v111, v113
	v_pk_add_f16 v113, v117, v118 op_sel:[0,1] op_sel_hi:[1,0] neg_lo:[0,1] neg_hi:[0,1]
	v_pk_add_f16 v114, v117, v118 op_sel:[0,1] op_sel_hi:[1,0]
	v_pk_mul_f16 v120, 0x38b4, v120 op_sel_hi:[0,1]
	v_pk_add_f16 v117, v106, v121 op_sel:[0,1] op_sel_hi:[1,0]
	v_pk_add_f16 v106, v106, v121 op_sel:[0,1] op_sel_hi:[1,0] neg_lo:[0,1] neg_hi:[0,1]
	v_pk_add_f16 v118, v123, v124 op_sel:[0,1] op_sel_hi:[1,0] neg_lo:[0,1] neg_hi:[0,1]
	v_pk_add_f16 v121, v123, v124 op_sel:[0,1] op_sel_hi:[1,0]
	v_pk_mul_f16 v128, 0x38b4, v128 op_sel_hi:[0,1]
	v_pk_add_f16 v123, v107, v129 op_sel:[0,1] op_sel_hi:[1,0]
	v_pk_add_f16 v107, v107, v129 op_sel:[0,1] op_sel_hi:[1,0] neg_lo:[0,1] neg_hi:[0,1]
	v_pk_add_f16 v113, v113, v119 op_sel:[0,1] op_sel_hi:[1,0] neg_lo:[0,1] neg_hi:[0,1]
	v_pk_add_f16 v114, v114, v119 op_sel:[0,1] op_sel_hi:[1,0]
	v_pk_add_f16 v111, v111, v115
	v_pk_add_f16 v115, v117, v120 op_sel:[0,1] op_sel_hi:[1,0] neg_lo:[0,1] neg_hi:[0,1]
	v_pk_add_f16 v106, v106, v120 op_sel:[0,1] op_sel_hi:[1,0]
	v_pk_add_f16 v112, v112, v116
	v_pk_add_f16 v116, v118, v125 op_sel:[0,1] op_sel_hi:[1,0] neg_lo:[0,1] neg_hi:[0,1]
	v_pk_add_f16 v117, v121, v125 op_sel:[0,1] op_sel_hi:[1,0]
	v_pk_add_f16 v118, v123, v128 op_sel:[0,1] op_sel_hi:[1,0] neg_lo:[0,1] neg_hi:[0,1]
	v_pk_add_f16 v107, v107, v128 op_sel:[0,1] op_sel_hi:[1,0]
	v_bfi_b32 v119, 0xffff, v113, v114
	v_bfi_b32 v120, 0xffff, v115, v106
	;; [unrolled: 1-line block ×4, first 2 shown]
	v_pk_add_f16 v127, v130, v131
	v_bfi_b32 v114, 0xffff, v116, v117
	v_pk_add_f16 v110, v110, v133
	v_bfi_b32 v115, 0xffff, v118, v107
	v_bfi_b32 v107, 0xffff, v107, v118
	;; [unrolled: 1-line block ×3, first 2 shown]
	v_pk_fma_f16 v117, 0x34f2, v122, v119 op_sel_hi:[0,1,1]
	v_pk_fma_f16 v118, 0x34f2, v109, v120 op_sel_hi:[0,1,1]
	;; [unrolled: 1-line block ×8, first 2 shown]
	ds_store_2addr_b32 v70, v111, v117 offset1:1
	ds_store_2addr_b32 v70, v118, v106 offset0:2 offset1:3
	ds_store_b32 v70, v109 offset:16
	ds_store_2addr_b32 v69, v112, v113 offset1:1
	ds_store_2addr_b32 v69, v114, v107 offset0:2 offset1:3
	ds_store_b32 v69, v110 offset:16
	global_wb scope:SCOPE_SE
	s_wait_dscnt 0x0
	s_barrier_signal -1
	s_barrier_wait -1
	global_inv scope:SCOPE_SE
	ds_load_2addr_b32 v[69:70], v59 offset1:135
	ds_load_2addr_b32 v[106:107], v34 offset0:14 offset1:149
	ds_load_2addr_b32 v[109:110], v33 offset0:28 offset1:163
	;; [unrolled: 1-line block ×4, first 2 shown]
	global_wb scope:SCOPE_SE
	s_wait_dscnt 0x0
	s_barrier_signal -1
	s_barrier_wait -1
	global_inv scope:SCOPE_SE
	v_lshrrev_b32_e32 v115, 16, v70
	v_lshrrev_b32_e32 v116, 16, v106
	;; [unrolled: 1-line block ×9, first 2 shown]
	v_mul_f16_e32 v125, v78, v106
	v_mul_f16_e32 v127, v76, v109
	v_mul_f16_e64 v128, v75, v110
	v_mul_f16_e64 v129, v74, v111
	;; [unrolled: 1-line block ×4, first 2 shown]
	v_mul_f16_e32 v124, v79, v70
	v_mul_f16_e32 v126, v77, v107
	v_mul_f16_e64 v132, v71, v114
	v_lshrrev_b32_e32 v108, 16, v69
	v_mul_f16_e32 v79, v79, v115
	v_mul_f16_e32 v78, v78, v116
	v_fma_f16 v116, v1, v116, -v125
	v_mul_f16_e32 v77, v77, v117
	v_mul_f16_e32 v76, v76, v118
	v_fma_f16 v118, v3, v118, -v127
	v_mul_f16_e32 v75, v75, v119
	v_fma_f16 v119, v4, v119, -v128
	;; [unrolled: 2-line block ×6, first 2 shown]
	v_fma_f16 v117, v2, v117, -v126
	v_fma_f16 v123, v67, v123, -v132
	v_fmac_f16_e32 v79, v0, v70
	v_fmac_f16_e32 v77, v2, v107
	;; [unrolled: 1-line block ×8, first 2 shown]
	v_add_f16_e32 v2, v108, v116
	v_add_f16_e32 v3, v118, v120
	v_sub_f16_e32 v4, v116, v118
	v_sub_f16_e32 v5, v122, v120
	v_add_f16_e32 v6, v116, v122
	v_sub_f16_e32 v7, v118, v116
	v_sub_f16_e32 v67, v120, v122
	v_add_f16_e32 v109, v119, v121
	v_add_f16_e32 v107, v115, v117
	;; [unrolled: 1-line block ×3, first 2 shown]
	v_fmac_f16_e32 v78, v1, v106
	v_add_f16_e32 v2, v2, v118
	v_fma_f16 v3, -0.5, v3, v108
	v_add_f16_e32 v4, v4, v5
	v_fmac_f16_e32 v108, -0.5, v6
	v_add_f16_e32 v5, v7, v67
	v_add_f16_e32 v6, v79, v77
	;; [unrolled: 1-line block ×3, first 2 shown]
	v_sub_f16_e32 v67, v77, v75
	v_add_f16_e64 v130, v77, v71
	v_sub_f16_e64 v131, v75, v77
	v_fma_f16 v109, -0.5, v109, v115
	v_sub_f16_e32 v77, v77, v71
	v_sub_f16_e32 v1, v118, v120
	;; [unrolled: 1-line block ×6, first 2 shown]
	v_add_f16_e32 v117, v76, v74
	v_sub_f16_e32 v118, v76, v74
	v_add_f16_e32 v107, v107, v119
	v_sub_f16_e32 v119, v75, v73
	v_fmac_f16_e32 v115, -0.5, v112
	v_sub_f16_e32 v0, v116, v122
	v_sub_f16_e32 v111, v123, v121
	v_add_f16_e32 v116, v69, v78
	v_add_f16_e32 v126, v78, v72
	;; [unrolled: 1-line block ×4, first 2 shown]
	v_fma_f16 v7, -0.5, v7, v79
	v_fmamk_f16 v120, v77, 0x3b9c, v109
	v_sub_f16_e32 v114, v121, v123
	v_sub_f16_e32 v124, v78, v76
	v_sub_f16_e32 v127, v76, v78
	v_sub_f16_e32 v78, v78, v72
	v_fma_f16 v112, -0.5, v117, v69
	v_fmamk_f16 v117, v118, 0xbb9c, v108
	v_fmac_f16_e32 v108, 0x3b9c, v118
	v_fmac_f16_e64 v79, -0.5, v130
	v_add_f16_e32 v107, v107, v121
	v_fmamk_f16 v121, v119, 0xbb9c, v115
	v_fmac_f16_e32 v115, 0x3b9c, v119
	v_fmac_f16_e32 v109, 0xbb9c, v77
	v_sub_f16_e32 v125, v72, v74
	v_sub_f16_e64 v129, v71, v73
	v_sub_f16_e64 v132, v73, v71
	v_add_f16_e32 v110, v110, v111
	v_add_f16_e32 v76, v116, v76
	v_fmac_f16_e32 v69, -0.5, v126
	v_add_f16_e32 v6, v6, v73
	v_fmamk_f16 v73, v70, 0xbb9c, v7
	v_fmac_f16_e32 v120, 0x38b4, v119
	v_add_f16_e32 v111, v113, v114
	v_fmamk_f16 v116, v78, 0x3b9c, v3
	v_fmac_f16_e32 v3, 0xbb9c, v78
	v_fmac_f16_e32 v117, 0x38b4, v78
	;; [unrolled: 1-line block ×4, first 2 shown]
	v_fmamk_f16 v78, v106, 0x3b9c, v79
	v_fmac_f16_e32 v79, 0xbb9c, v106
	v_fmac_f16_e32 v121, 0x38b4, v77
	v_fmac_f16_e32 v115, 0xb8b4, v77
	v_fmac_f16_e32 v109, 0xb8b4, v119
	v_sub_f16_e64 v128, v74, v72
	v_add_f16_e32 v113, v124, v125
	v_add_f16_e64 v67, v67, v129
	v_add_f16_e32 v74, v76, v74
	v_fmamk_f16 v76, v0, 0xbb9c, v112
	v_fmamk_f16 v124, v1, 0x3b9c, v69
	v_fmac_f16_e32 v69, 0xbb9c, v1
	v_fmac_f16_e32 v73, 0xb8b4, v106
	;; [unrolled: 1-line block ×3, first 2 shown]
	v_add_f16_e64 v75, v131, v132
	v_fmac_f16_e32 v7, 0x38b4, v106
	v_fmac_f16_e32 v78, 0xb8b4, v70
	;; [unrolled: 1-line block ×7, first 2 shown]
	v_add_f16_e32 v2, v2, v122
	v_fmac_f16_e32 v116, 0x38b4, v118
	v_fmac_f16_e32 v3, 0xb8b4, v118
	v_add_f16_e32 v107, v107, v123
	v_add_f16_e32 v72, v74, v72
	v_fmac_f16_e32 v76, 0xb8b4, v1
	v_fmac_f16_e32 v124, 0xb8b4, v0
	;; [unrolled: 1-line block ×5, first 2 shown]
	v_add_f16_e32 v0, v6, v71
	v_fmac_f16_e32 v73, 0x34f2, v67
	v_mul_f16_e32 v5, 0xb8b4, v120
	v_mul_f16_e32 v71, 0x3a79, v120
	v_add_f16_e64 v114, v127, v128
	v_fmac_f16_e32 v7, 0x34f2, v67
	v_fmac_f16_e32 v78, 0x34f2, v75
	;; [unrolled: 1-line block ×3, first 2 shown]
	v_mul_f16_e32 v6, 0xbb9c, v121
	v_mul_f16_e32 v67, 0xbb9c, v115
	;; [unrolled: 1-line block ×4, first 2 shown]
	v_fmac_f16_e32 v112, 0x38b4, v1
	v_mul_f16_e32 v70, 0xb8b4, v109
	v_mul_f16_e32 v77, 0xba79, v109
	v_fmac_f16_e32 v116, 0x34f2, v4
	v_fmac_f16_e32 v3, 0x34f2, v4
	v_add_f16_e32 v1, v2, v107
	v_sub_f16_e32 v2, v2, v107
	v_fmac_f16_e32 v76, 0x34f2, v113
	v_add_f16_e32 v4, v72, v0
	v_sub_f16_e32 v0, v72, v0
	v_fmac_f16_e32 v5, 0x3a79, v73
	v_fmac_f16_e32 v71, 0x38b4, v73
	;; [unrolled: 1-line block ×11, first 2 shown]
	v_pack_b32_f16 v0, v0, v2
	v_add_f16_e32 v2, v76, v5
	v_add_f16_e32 v73, v116, v71
	v_pack_b32_f16 v1, v4, v1
	v_add_f16_e32 v4, v124, v6
	v_add_f16_e32 v7, v69, v67
	;; [unrolled: 1-line block ×6, first 2 shown]
	v_sub_f16_e32 v5, v76, v5
	v_sub_f16_e32 v6, v124, v6
	;; [unrolled: 1-line block ×8, first 2 shown]
	v_pack_b32_f16 v2, v2, v73
	v_pack_b32_f16 v3, v4, v78
	;; [unrolled: 1-line block ×8, first 2 shown]
	ds_store_2addr_b32 v68, v1, v2 offset1:5
	ds_store_2addr_b32 v68, v3, v4 offset0:10 offset1:15
	ds_store_2addr_b32 v68, v7, v0 offset0:20 offset1:25
	;; [unrolled: 1-line block ×4, first 2 shown]
	global_wb scope:SCOPE_SE
	s_wait_dscnt 0x0
	s_barrier_signal -1
	s_barrier_wait -1
	global_inv scope:SCOPE_SE
	ds_load_2addr_b32 v[2:3], v59 offset1:135
	ds_load_2addr_b32 v[0:1], v34 offset0:14 offset1:194
	ds_load_2addr_b32 v[6:7], v42 offset0:4 offset1:139
	ds_load_2addr_b32 v[4:5], v33 offset0:73 offset1:208
	ds_load_b32 v33, v59 offset:4680
	s_and_saveexec_b32 s0, vcc_lo
	s_cbranch_execz .LBB0_15
; %bb.14:
	ds_load_b32 v67, v59 offset:1620
	ds_load_b32 v35, v59 offset:3420
	;; [unrolled: 1-line block ×3, first 2 shown]
	s_wait_dscnt 0x2
	v_lshrrev_b32_e32 v69, 16, v67
	s_wait_dscnt 0x1
	v_lshrrev_b32_e32 v40, 16, v35
	;; [unrolled: 2-line block ×3, first 2 shown]
.LBB0_15:
	s_wait_alu 0xfffe
	s_or_b32 exec_lo, exec_lo, s0
	s_wait_dscnt 0x3
	v_lshrrev_b32_e32 v42, 16, v1
	s_wait_dscnt 0x2
	v_lshrrev_b32_e32 v68, 16, v6
	;; [unrolled: 2-line block ×3, first 2 shown]
	v_mul_f16_e32 v76, v94, v1
	v_lshrrev_b32_e32 v72, 16, v7
	v_mul_f16_e32 v74, v94, v42
	v_mul_f16_e32 v78, v92, v68
	v_lshrrev_b32_e32 v75, 16, v5
	s_wait_dscnt 0x0
	v_lshrrev_b32_e32 v77, 16, v33
	v_lshrrev_b32_e32 v34, 16, v2
	v_fmac_f16_e32 v74, v15, v1
	v_mul_f16_e32 v1, v92, v6
	v_fma_f16 v15, v15, v42, -v76
	v_mul_f16_e32 v42, v93, v71
	v_fmac_f16_e32 v78, v16, v6
	v_mul_f16_e32 v6, v93, v4
	v_fma_f16 v1, v16, v68, -v1
	v_mul_f16_e32 v16, v90, v72
	v_fmac_f16_e32 v42, v13, v4
	v_mul_f16_e32 v4, v90, v7
	v_fma_f16 v6, v13, v71, -v6
	v_mul_f16_e32 v13, v91, v75
	v_fmac_f16_e32 v16, v14, v7
	v_mul_f16_e32 v7, v91, v5
	v_fma_f16 v4, v14, v72, -v4
	v_mul_f16_e32 v14, v89, v77
	v_fmac_f16_e32 v13, v11, v5
	v_mul_f16_e32 v5, v89, v33
	v_fma_f16 v7, v11, v75, -v7
	v_mul_f16_e32 v11, v88, v40
	v_fmac_f16_e32 v14, v12, v33
	v_mul_f16_e32 v33, v88, v35
	v_fma_f16 v5, v12, v77, -v5
	v_mul_f16_e32 v12, v87, v39
	v_fmac_f16_e32 v11, v9, v35
	v_mul_f16_e32 v35, v87, v38
	v_fma_f16 v9, v9, v40, -v33
	v_add_f16_e32 v33, v74, v78
	v_fmac_f16_e32 v12, v10, v38
	v_add_f16_e32 v38, v2, v74
	v_fma_f16 v10, v10, v39, -v35
	v_add_f16_e32 v35, v15, v1
	v_fma_f16 v2, -0.5, v33, v2
	v_sub_f16_e32 v33, v15, v1
	v_add_f16_e32 v15, v34, v15
	v_lshrrev_b32_e32 v70, 16, v3
	v_fmac_f16_e32 v34, -0.5, v35
	v_sub_f16_e32 v35, v74, v78
	v_fmamk_f16 v39, v33, 0xbaee, v2
	v_add_f16_e32 v1, v15, v1
	v_add_f16_e32 v15, v42, v16
	v_fmac_f16_e32 v2, 0x3aee, v33
	v_fmamk_f16 v33, v35, 0x3aee, v34
	v_add_f16_e32 v40, v3, v42
	v_fmac_f16_e32 v34, 0xbaee, v35
	v_add_f16_e32 v35, v6, v4
	v_fmac_f16_e32 v3, -0.5, v15
	v_sub_f16_e32 v15, v6, v4
	v_add_f16_e32 v6, v70, v6
	v_add_f16_e32 v40, v40, v16
	v_fmac_f16_e32 v70, -0.5, v35
	v_sub_f16_e32 v16, v42, v16
	v_lshrrev_b32_e32 v73, 16, v0
	v_add_f16_e32 v4, v6, v4
	v_add_f16_e32 v6, v13, v14
	v_fmamk_f16 v35, v15, 0xbaee, v3
	v_fmac_f16_e32 v3, 0x3aee, v15
	v_fmamk_f16 v15, v16, 0x3aee, v70
	v_add_f16_e32 v42, v0, v13
	v_fmac_f16_e32 v70, 0xbaee, v16
	v_add_f16_e32 v16, v7, v5
	v_fmac_f16_e32 v0, -0.5, v6
	v_sub_f16_e32 v6, v7, v5
	v_add_f16_e32 v42, v42, v14
	v_add_f16_e32 v7, v73, v7
	v_fmac_f16_e32 v73, -0.5, v16
	v_sub_f16_e32 v13, v13, v14
	v_fmamk_f16 v14, v6, 0xbaee, v0
	v_fmac_f16_e32 v0, 0x3aee, v6
	v_add_f16_e32 v6, v11, v12
	v_add_f16_e32 v38, v38, v78
	;; [unrolled: 1-line block ×3, first 2 shown]
	v_fmamk_f16 v7, v13, 0x3aee, v73
	v_fmac_f16_e32 v73, 0xbaee, v13
	v_add_f16_e32 v13, v9, v10
	v_add_f16_e32 v16, v67, v11
	v_fmac_f16_e32 v67, -0.5, v6
	v_sub_f16_e32 v6, v9, v10
	v_add_f16_e32 v68, v69, v9
	v_fmac_f16_e32 v69, -0.5, v13
	v_sub_f16_e32 v13, v11, v12
	v_pack_b32_f16 v1, v38, v1
	v_fmamk_f16 v11, v6, 0xbaee, v67
	v_fmac_f16_e32 v67, 0x3aee, v6
	v_pack_b32_f16 v6, v39, v33
	v_add_f16_e32 v9, v16, v12
	v_add_f16_e32 v10, v68, v10
	v_fmamk_f16 v12, v13, 0x3aee, v69
	v_fmac_f16_e32 v69, 0xbaee, v13
	global_wb scope:SCOPE_SE
	s_barrier_signal -1
	s_barrier_wait -1
	global_inv scope:SCOPE_SE
	ds_store_2addr_b32 v81, v1, v6 offset1:50
	v_pack_b32_f16 v1, v2, v34
	v_pack_b32_f16 v2, v40, v4
	;; [unrolled: 1-line block ×7, first 2 shown]
	ds_store_b32 v81, v1 offset:400
	ds_store_2addr_b32 v83, v2, v4 offset1:50
	ds_store_b32 v83, v3 offset:400
	ds_store_2addr_b32 v82, v5, v6 offset1:50
	ds_store_b32 v82, v0 offset:400
	s_and_saveexec_b32 s0, vcc_lo
	s_cbranch_execz .LBB0_17
; %bb.16:
	v_lshlrev_b32_e32 v0, 2, v80
	v_perm_b32 v1, v10, v9, 0x5040100
	v_perm_b32 v2, v12, v11, 0x5040100
	;; [unrolled: 1-line block ×3, first 2 shown]
	s_delay_alu instid0(VALU_DEP_4)
	v_add_nc_u32_e32 v3, 0x1000, v0
	ds_store_2addr_b32 v3, v1, v2 offset0:176 offset1:226
	ds_store_b32 v0, v4 offset:5200
.LBB0_17:
	s_wait_alu 0xfffe
	s_or_b32 exec_lo, exec_lo, s0
	v_add_nc_u32_e32 v0, 0x400, v59
	v_add_nc_u32_e32 v4, 0xe00, v59
	;; [unrolled: 1-line block ×3, first 2 shown]
	global_wb scope:SCOPE_SE
	s_wait_dscnt 0x0
	s_barrier_signal -1
	s_barrier_wait -1
	global_inv scope:SCOPE_SE
	ds_load_2addr_b32 v[2:3], v59 offset1:135
	ds_load_2addr_b32 v[0:1], v0 offset0:14 offset1:194
	ds_load_2addr_b32 v[6:7], v4 offset0:4 offset1:139
	;; [unrolled: 1-line block ×3, first 2 shown]
	ds_load_b32 v13, v59 offset:4680
	s_and_saveexec_b32 s0, vcc_lo
	s_cbranch_execz .LBB0_19
; %bb.18:
	ds_load_b32 v9, v59 offset:1620
	ds_load_b32 v11, v59 offset:3420
	;; [unrolled: 1-line block ×3, first 2 shown]
	s_wait_dscnt 0x2
	v_lshrrev_b32_e32 v10, 16, v9
	s_wait_dscnt 0x1
	v_lshrrev_b32_e32 v12, 16, v11
	;; [unrolled: 2-line block ×3, first 2 shown]
.LBB0_19:
	s_wait_alu 0xfffe
	s_or_b32 exec_lo, exec_lo, s0
	s_wait_dscnt 0x3
	v_lshrrev_b32_e32 v14, 16, v1
	s_wait_dscnt 0x2
	v_lshrrev_b32_e32 v16, 16, v6
	;; [unrolled: 2-line block ×3, first 2 shown]
	v_lshrrev_b32_e32 v35, 16, v7
	v_mul_f16_e32 v42, v95, v1
	v_mul_f16_e32 v39, v95, v14
	;; [unrolled: 1-line block ×3, first 2 shown]
	v_lshrrev_b32_e32 v40, 16, v5
	s_wait_dscnt 0x0
	v_lshrrev_b32_e32 v68, 16, v13
	v_fma_f16 v14, v17, v14, -v42
	v_fmac_f16_e32 v39, v17, v1
	v_mul_f16_e32 v1, v96, v6
	v_mul_f16_e32 v17, v101, v34
	v_fmac_f16_e32 v70, v18, v6
	v_mul_f16_e32 v6, v101, v4
	v_lshrrev_b32_e32 v15, 16, v2
	v_fma_f16 v1, v18, v16, -v1
	v_mul_f16_e32 v16, v99, v35
	v_fmac_f16_e32 v17, v25, v4
	v_mul_f16_e32 v4, v99, v7
	v_fma_f16 v6, v25, v34, -v6
	v_mul_f16_e32 v18, v102, v40
	v_fmac_f16_e32 v16, v26, v7
	v_mul_f16_e32 v7, v102, v5
	v_mul_f16_e32 v25, v100, v68
	v_lshrrev_b32_e32 v33, 16, v3
	v_fmac_f16_e32 v18, v23, v5
	v_mul_f16_e32 v5, v100, v13
	v_fma_f16 v7, v23, v40, -v7
	v_mul_f16_e32 v23, v98, v12
	v_fmac_f16_e32 v25, v24, v13
	v_mul_f16_e32 v13, v98, v11
	v_fma_f16 v5, v24, v68, -v5
	v_mul_f16_e32 v24, v97, v69
	v_fmac_f16_e32 v23, v19, v11
	v_mul_f16_e32 v11, v97, v67
	v_fma_f16 v12, v19, v12, -v13
	v_add_f16_e32 v13, v39, v70
	v_fmac_f16_e32 v24, v20, v67
	v_add_f16_e32 v19, v2, v39
	v_fma_f16 v20, v20, v69, -v11
	v_add_f16_e32 v11, v14, v1
	v_fma_f16 v2, -0.5, v13, v2
	v_sub_f16_e32 v13, v14, v1
	v_fma_f16 v4, v26, v35, -v4
	v_add_f16_e32 v14, v15, v14
	v_fmac_f16_e32 v15, -0.5, v11
	v_sub_f16_e32 v11, v39, v70
	v_fmamk_f16 v26, v13, 0xbaee, v2
	v_fmac_f16_e32 v2, 0x3aee, v13
	v_add_f16_e32 v13, v17, v16
	v_add_f16_e32 v1, v14, v1
	v_fmamk_f16 v34, v11, 0x3aee, v15
	v_add_f16_e32 v14, v3, v17
	v_fmac_f16_e32 v15, 0xbaee, v11
	v_add_f16_e32 v11, v6, v4
	v_fmac_f16_e32 v3, -0.5, v13
	v_sub_f16_e32 v13, v6, v4
	v_add_f16_e32 v6, v33, v6
	v_lshrrev_b32_e32 v38, 16, v0
	v_fmac_f16_e32 v33, -0.5, v11
	v_sub_f16_e32 v11, v17, v16
	v_add_f16_e32 v35, v14, v16
	v_add_f16_e32 v4, v6, v4
	;; [unrolled: 1-line block ×3, first 2 shown]
	v_fmamk_f16 v16, v13, 0xbaee, v3
	v_fmac_f16_e32 v3, 0x3aee, v13
	v_fmamk_f16 v17, v11, 0x3aee, v33
	v_add_f16_e32 v13, v0, v18
	v_fmac_f16_e32 v33, 0xbaee, v11
	v_add_f16_e32 v11, v7, v5
	v_fmac_f16_e32 v0, -0.5, v6
	v_sub_f16_e32 v6, v7, v5
	v_add_f16_e32 v7, v38, v7
	v_add_f16_e32 v19, v19, v70
	v_fmac_f16_e32 v38, -0.5, v11
	v_sub_f16_e32 v11, v18, v25
	v_fmamk_f16 v18, v6, 0xbaee, v0
	v_fmac_f16_e32 v0, 0x3aee, v6
	v_add_f16_e32 v6, v23, v24
	v_add_f16_e32 v39, v13, v25
	;; [unrolled: 1-line block ×3, first 2 shown]
	v_fmamk_f16 v7, v11, 0x3aee, v38
	v_fmac_f16_e32 v38, 0xbaee, v11
	v_add_f16_e32 v11, v12, v20
	v_add_f16_e32 v13, v9, v23
	v_fmac_f16_e32 v9, -0.5, v6
	v_sub_f16_e32 v6, v12, v20
	v_add_f16_e32 v12, v10, v12
	v_fmac_f16_e32 v10, -0.5, v11
	v_sub_f16_e32 v23, v23, v24
	v_add_f16_e32 v11, v13, v24
	v_fmamk_f16 v13, v6, 0xbaee, v9
	v_fmac_f16_e32 v9, 0x3aee, v6
	v_pack_b32_f16 v1, v19, v1
	v_pack_b32_f16 v6, v26, v34
	v_add_f16_e32 v12, v12, v20
	v_fmamk_f16 v14, v23, 0x3aee, v10
	v_fmac_f16_e32 v10, 0xbaee, v23
	global_wb scope:SCOPE_SE
	s_barrier_signal -1
	s_barrier_wait -1
	global_inv scope:SCOPE_SE
	ds_store_2addr_b32 v59, v1, v6 offset1:150
	v_pack_b32_f16 v1, v2, v15
	v_pack_b32_f16 v2, v35, v4
	;; [unrolled: 1-line block ×7, first 2 shown]
	ds_store_b32 v59, v1 offset:1200
	ds_store_2addr_b32 v85, v2, v4 offset1:150
	ds_store_b32 v85, v3 offset:1200
	ds_store_2addr_b32 v86, v5, v6 offset1:150
	ds_store_b32 v86, v0 offset:1200
	s_and_saveexec_b32 s0, vcc_lo
	s_cbranch_execz .LBB0_21
; %bb.20:
	v_lshlrev_b32_e32 v0, 2, v84
	v_perm_b32 v1, v12, v11, 0x5040100
	v_perm_b32 v2, v14, v13, 0x5040100
	;; [unrolled: 1-line block ×3, first 2 shown]
	s_delay_alu instid0(VALU_DEP_4)
	v_add_nc_u32_e32 v3, 0xe00, v0
	ds_store_2addr_b32 v3, v1, v2 offset0:4 offset1:154
	ds_store_b32 v0, v4 offset:4800
.LBB0_21:
	s_wait_alu 0xfffe
	s_or_b32 exec_lo, exec_lo, s0
	v_add_nc_u32_e32 v0, 0x400, v59
	v_add_nc_u32_e32 v4, 0xe00, v59
	;; [unrolled: 1-line block ×3, first 2 shown]
	global_wb scope:SCOPE_SE
	s_wait_dscnt 0x0
	s_barrier_signal -1
	s_barrier_wait -1
	global_inv scope:SCOPE_SE
	ds_load_2addr_b32 v[2:3], v59 offset1:135
	ds_load_2addr_b32 v[0:1], v0 offset0:14 offset1:194
	ds_load_2addr_b32 v[6:7], v4 offset0:4 offset1:139
	;; [unrolled: 1-line block ×3, first 2 shown]
	ds_load_b32 v16, v59 offset:4680
	s_and_saveexec_b32 s0, vcc_lo
	s_cbranch_execz .LBB0_23
; %bb.22:
	ds_load_b32 v11, v59 offset:1620
	ds_load_b32 v13, v59 offset:3420
	ds_load_b32 v9, v59 offset:5220
	s_wait_dscnt 0x2
	v_lshrrev_b32_e32 v12, 16, v11
	s_wait_dscnt 0x1
	v_lshrrev_b32_e32 v14, 16, v13
	;; [unrolled: 2-line block ×3, first 2 shown]
.LBB0_23:
	s_wait_alu 0xfffe
	s_or_b32 exec_lo, exec_lo, s0
	s_wait_dscnt 0x3
	v_lshrrev_b32_e32 v18, 16, v1
	s_wait_dscnt 0x2
	v_lshrrev_b32_e32 v19, 16, v6
	s_wait_dscnt 0x1
	v_lshrrev_b32_e32 v23, 16, v4
	v_mul_f16_e32 v34, v44, v1
	v_lshrrev_b32_e32 v24, 16, v7
	v_mul_f16_e32 v26, v44, v18
	v_mul_f16_e32 v38, v43, v19
	v_lshrrev_b32_e32 v33, 16, v5
	v_fma_f16 v18, v27, v18, -v34
	s_wait_dscnt 0x0
	v_lshrrev_b32_e32 v35, 16, v16
	v_fmac_f16_e32 v26, v27, v1
	v_mul_f16_e32 v1, v43, v6
	v_mul_f16_e32 v27, v105, v23
	v_fmac_f16_e32 v38, v28, v6
	v_mul_f16_e32 v6, v105, v4
	v_lshrrev_b32_e32 v17, 16, v2
	v_fma_f16 v1, v28, v19, -v1
	v_mul_f16_e32 v19, v103, v24
	v_fmac_f16_e32 v27, v31, v4
	v_mul_f16_e32 v4, v103, v7
	v_fma_f16 v6, v31, v23, -v6
	v_mul_f16_e32 v23, v104, v33
	v_fmac_f16_e32 v19, v32, v7
	v_mul_f16_e32 v7, v104, v5
	v_fma_f16 v4, v32, v24, -v4
	v_mul_f16_e32 v24, v41, v35
	v_add_f16_e32 v28, v26, v38
	v_fmac_f16_e32 v23, v29, v5
	v_fma_f16 v7, v29, v33, -v7
	v_add_f16_e32 v29, v18, v1
	v_mul_f16_e32 v5, v41, v16
	v_fmac_f16_e32 v24, v30, v16
	v_add_f16_e32 v16, v2, v26
	v_fma_f16 v2, -0.5, v28, v2
	v_sub_f16_e32 v28, v18, v1
	v_add_f16_e32 v18, v17, v18
	v_fmac_f16_e32 v17, -0.5, v29
	v_sub_f16_e32 v26, v26, v38
	v_lshrrev_b32_e32 v20, 16, v3
	v_fma_f16 v5, v30, v35, -v5
	v_add_f16_e32 v1, v18, v1
	v_add_f16_e32 v18, v27, v19
	v_fmamk_f16 v29, v28, 0xbaee, v2
	v_fmac_f16_e32 v2, 0x3aee, v28
	v_fmamk_f16 v28, v26, 0x3aee, v17
	v_add_f16_e32 v30, v3, v27
	v_fmac_f16_e32 v17, 0xbaee, v26
	v_add_f16_e32 v26, v6, v4
	v_fmac_f16_e32 v3, -0.5, v18
	v_sub_f16_e32 v18, v6, v4
	v_add_f16_e32 v6, v20, v6
	v_add_f16_e32 v30, v30, v19
	v_fmac_f16_e32 v20, -0.5, v26
	v_sub_f16_e32 v19, v27, v19
	v_lshrrev_b32_e32 v25, 16, v0
	v_add_f16_e32 v4, v6, v4
	v_add_f16_e32 v6, v23, v24
	v_fmamk_f16 v26, v18, 0xbaee, v3
	v_fmac_f16_e32 v3, 0x3aee, v18
	v_fmamk_f16 v18, v19, 0x3aee, v20
	v_fmac_f16_e32 v20, 0xbaee, v19
	v_add_f16_e32 v19, v7, v5
	v_add_f16_e32 v27, v0, v23
	v_fmac_f16_e32 v0, -0.5, v6
	v_sub_f16_e32 v6, v7, v5
	v_add_f16_e32 v7, v25, v7
	v_fmac_f16_e32 v25, -0.5, v19
	v_sub_f16_e32 v19, v23, v24
	v_add_f16_e32 v23, v27, v24
	v_add_f16_e32 v16, v16, v38
	;; [unrolled: 1-line block ×3, first 2 shown]
	v_fmamk_f16 v24, v6, 0xbaee, v0
	v_fmac_f16_e32 v0, 0x3aee, v6
	v_fmamk_f16 v6, v19, 0x3aee, v25
	v_fmac_f16_e32 v25, 0xbaee, v19
	v_pack_b32_f16 v7, v29, v28
	v_pack_b32_f16 v2, v2, v17
	;; [unrolled: 1-line block ×3, first 2 shown]
	v_add_nc_u32_e32 v5, 0x1000, v59
	v_pack_b32_f16 v1, v16, v1
	v_pack_b32_f16 v4, v30, v4
	;; [unrolled: 1-line block ×6, first 2 shown]
	ds_store_b32 v59, v7 offset:1800
	ds_store_b32 v59, v2 offset:3600
	ds_store_2addr_b32 v59, v1, v4 offset1:135
	ds_store_b32 v59, v17 offset:1080
	ds_store_2addr_b32 v15, v16, v6 offset0:73 offset1:208
	ds_store_2addr_b32 v5, v3, v0 offset0:11 offset1:146
	s_and_saveexec_b32 s0, vcc_lo
	s_cbranch_execz .LBB0_25
; %bb.24:
	v_mul_f16_e32 v0, v37, v13
	v_mul_f16_e32 v1, v36, v9
	;; [unrolled: 1-line block ×4, first 2 shown]
	s_delay_alu instid0(VALU_DEP_4) | instskip(NEXT) | instid1(VALU_DEP_4)
	v_fma_f16 v0, v21, v14, -v0
	v_fma_f16 v1, v22, v10, -v1
	s_delay_alu instid0(VALU_DEP_4) | instskip(NEXT) | instid1(VALU_DEP_4)
	v_fmac_f16_e32 v2, v21, v13
	v_fmac_f16_e32 v3, v22, v9
	s_delay_alu instid0(VALU_DEP_4) | instskip(NEXT) | instid1(VALU_DEP_4)
	v_add_f16_e32 v9, v12, v0
	v_add_f16_e32 v4, v0, v1
	v_sub_f16_e32 v0, v0, v1
	s_delay_alu instid0(VALU_DEP_4)
	v_add_f16_e32 v7, v2, v3
	v_sub_f16_e32 v6, v2, v3
	v_add_f16_e32 v2, v11, v2
	v_fma_f16 v4, -0.5, v4, v12
	v_add_f16_e32 v1, v9, v1
	v_fma_f16 v7, -0.5, v7, v11
	s_delay_alu instid0(VALU_DEP_4) | instskip(NEXT) | instid1(VALU_DEP_4)
	v_add_f16_e32 v2, v2, v3
	v_fmamk_f16 v3, v6, 0xbaee, v4
	v_fmac_f16_e32 v4, 0x3aee, v6
	s_delay_alu instid0(VALU_DEP_4) | instskip(SKIP_2) | instid1(VALU_DEP_3)
	v_fmamk_f16 v6, v0, 0x3aee, v7
	v_fmac_f16_e32 v7, 0xbaee, v0
	v_pack_b32_f16 v0, v2, v1
	v_pack_b32_f16 v2, v6, v3
	s_delay_alu instid0(VALU_DEP_3)
	v_pack_b32_f16 v1, v7, v4
	ds_store_b32 v59, v0 offset:1620
	ds_store_b32 v59, v1 offset:3420
	;; [unrolled: 1-line block ×3, first 2 shown]
.LBB0_25:
	s_wait_alu 0xfffe
	s_or_b32 exec_lo, exec_lo, s0
	global_wb scope:SCOPE_SE
	s_wait_dscnt 0x0
	s_barrier_signal -1
	s_barrier_wait -1
	global_inv scope:SCOPE_SE
	ds_load_2addr_b32 v[6:7], v59 offset1:135
	v_mad_co_u64_u32 v[21:22], null, s6, v8, 0
	v_add_nc_u32_e32 v0, 0x400, v59
	s_mov_b32 s8, 0xa0ce5129
	s_mov_b32 s9, 0x3f4845c8
	v_mad_co_u64_u32 v[23:24], null, s4, v57, 0
	ds_load_2addr_b32 v[3:4], v0 offset0:14 offset1:149
	v_add_nc_u32_e32 v0, 0x800, v59
	ds_load_2addr_b32 v[1:2], v0 offset0:28 offset1:163
	s_wait_dscnt 0x2
	v_lshrrev_b32_e32 v9, 16, v6
	v_mul_f16_e32 v10, v66, v6
	s_delay_alu instid0(VALU_DEP_2) | instskip(NEXT) | instid1(VALU_DEP_2)
	v_mul_f16_e32 v0, v66, v9
	v_fma_f16 v9, v62, v9, -v10
	s_wait_dscnt 0x1
	v_lshrrev_b32_e32 v13, 16, v3
	v_mul_f16_e32 v11, v65, v3
	v_fmac_f16_e32 v0, v62, v6
	v_cvt_f32_f16_e32 v6, v9
	s_wait_dscnt 0x0
	v_lshrrev_b32_e32 v17, 16, v1
	s_delay_alu instid0(VALU_DEP_3) | instskip(NEXT) | instid1(VALU_DEP_3)
	v_cvt_f32_f16_e32 v0, v0
	v_cvt_f64_f32_e32 v[9:10], v6
	v_fma_f16 v6, v63, v13, -v11
	s_delay_alu instid0(VALU_DEP_3) | instskip(SKIP_1) | instid1(VALU_DEP_3)
	v_cvt_f64_f32_e32 v[11:12], v0
	v_mul_f16_e32 v0, v65, v13
	v_cvt_f32_f16_e32 v6, v6
	s_delay_alu instid0(VALU_DEP_2) | instskip(NEXT) | instid1(VALU_DEP_2)
	v_fmac_f16_e32 v0, v63, v3
	v_cvt_f64_f32_e32 v[13:14], v6
	v_mul_f16_e32 v3, v64, v17
	v_mov_b32_e32 v6, v24
	s_delay_alu instid0(VALU_DEP_4) | instskip(NEXT) | instid1(VALU_DEP_3)
	v_cvt_f32_f16_e32 v0, v0
	v_fmac_f16_e32 v3, v61, v1
	s_delay_alu instid0(VALU_DEP_2) | instskip(SKIP_1) | instid1(VALU_DEP_3)
	v_cvt_f64_f32_e32 v[15:16], v0
	v_mul_f16_e32 v0, v64, v1
	v_cvt_f32_f16_e32 v1, v3
	s_delay_alu instid0(VALU_DEP_2) | instskip(NEXT) | instid1(VALU_DEP_2)
	v_fma_f16 v0, v61, v17, -v0
	v_cvt_f64_f32_e32 v[17:18], v1
	v_add_nc_u32_e32 v1, 0xc00, v59
	s_delay_alu instid0(VALU_DEP_3)
	v_cvt_f32_f16_e32 v3, v0
	ds_load_2addr_b32 v[0:1], v1 offset0:42 offset1:177
	v_cvt_f64_f32_e32 v[19:20], v3
	v_mov_b32_e32 v3, v22
	s_wait_alu 0xfffe
	v_mul_f64_e32 v[9:10], s[8:9], v[9:10]
	v_mul_f64_e32 v[11:12], s[8:9], v[11:12]
	s_delay_alu instid0(VALU_DEP_3)
	v_mad_co_u64_u32 v[24:25], null, s7, v8, v[3:4]
	v_mad_co_u64_u32 v[25:26], null, s5, v57, v[6:7]
	v_mul_f64_e32 v[13:14], s[8:9], v[13:14]
	s_wait_dscnt 0x0
	v_lshrrev_b32_e32 v27, 16, v0
	v_mul_f64_e32 v[15:16], s[8:9], v[15:16]
	s_delay_alu instid0(VALU_DEP_2) | instskip(NEXT) | instid1(VALU_DEP_1)
	v_mul_f16_e32 v3, v60, v27
	v_fmac_f16_e32 v3, v56, v0
	v_mul_f64_e32 v[17:18], s[8:9], v[17:18]
	v_mul_f16_e32 v0, v60, v0
	s_delay_alu instid0(VALU_DEP_3) | instskip(NEXT) | instid1(VALU_DEP_2)
	v_cvt_f32_f16_e32 v3, v3
	v_fma_f16 v0, v56, v27, -v0
	v_mul_f64_e32 v[19:20], s[8:9], v[19:20]
	v_and_or_b32 v6, 0x1ff, v10, v9
	v_lshrrev_b32_e32 v8, 8, v10
	v_bfe_u32 v9, v10, 20, 11
	v_mov_b32_e32 v22, v24
	v_and_or_b32 v11, 0x1ff, v12, v11
	v_cmp_ne_u32_e32 vcc_lo, 0, v6
	v_bfe_u32 v26, v12, 20, 11
	v_mov_b32_e32 v24, v25
	v_lshrrev_b32_e32 v25, 8, v12
	v_sub_nc_u32_e32 v28, 0x3f1, v9
	s_wait_alu 0xfffd
	v_cndmask_b32_e64 v6, 0, 1, vcc_lo
	v_and_or_b32 v13, 0x1ff, v14, v13
	v_cmp_ne_u32_e32 vcc_lo, 0, v11
	v_add_nc_u32_e32 v9, 0xfffffc10, v9
	v_sub_nc_u32_e32 v31, 0x3f1, v26
	v_and_or_b32 v6, 0xffe, v8, v6
	v_lshrrev_b32_e32 v29, 8, v14
	s_wait_alu 0xfffd
	v_cndmask_b32_e64 v11, 0, 1, vcc_lo
	v_cmp_ne_u32_e32 vcc_lo, 0, v13
	v_bfe_u32 v30, v14, 20, 11
	v_and_or_b32 v15, 0x1ff, v16, v15
	v_lshl_or_b32 v35, v9, 12, v6
	v_and_or_b32 v11, 0xffe, v25, v11
	s_wait_alu 0xfffd
	v_cndmask_b32_e64 v13, 0, 1, vcc_lo
	v_cmp_ne_u32_e32 vcc_lo, 0, v6
	v_med3_i32 v25, v31, 0, 13
	v_or_b32_e32 v31, 0x1000, v6
	v_and_or_b32 v17, 0x1ff, v18, v17
	v_med3_i32 v8, v28, 0, 13
	s_wait_alu 0xfffd
	v_cndmask_b32_e64 v6, 0, 1, vcc_lo
	v_cmp_ne_u32_e32 vcc_lo, 0, v15
	v_lshrrev_b32_e32 v28, 8, v16
	v_sub_nc_u32_e32 v33, 0x3f1, v30
	v_add_nc_u32_e32 v30, 0xfffffc10, v30
	v_and_or_b32 v13, 0xffe, v29, v13
	s_wait_alu 0xfffd
	v_cndmask_b32_e64 v15, 0, 1, vcc_lo
	v_cmp_ne_u32_e32 vcc_lo, 0, v17
	v_bfe_u32 v32, v16, 20, 11
	v_lshrrev_b32_e32 v38, v8, v31
	v_lshl_or_b32 v39, v30, 12, v13
	v_add_nc_u32_e32 v26, 0xfffffc10, v26
	s_wait_alu 0xfffd
	v_cndmask_b32_e64 v17, 0, 1, vcc_lo
	v_cmp_ne_u32_e32 vcc_lo, 0, v11
	v_and_or_b32 v15, 0xffe, v28, v15
	v_sub_nc_u32_e32 v36, 0x3f1, v32
	v_add_nc_u32_e32 v32, 0xfffffc10, v32
	v_med3_i32 v29, v33, 0, 13
	v_or_b32_e32 v33, 0x1000, v11
	v_lshl_or_b32 v37, v26, 12, v11
	s_wait_alu 0xfffd
	v_cndmask_b32_e64 v11, 0, 1, vcc_lo
	v_lshlrev_b32_e32 v8, v8, v38
	v_cmp_ne_u32_e32 vcc_lo, 0, v15
	v_med3_i32 v28, v36, 0, 13
	v_or_b32_e32 v36, 0x1000, v13
	v_lshrrev_b32_e32 v40, v25, v33
	v_or_b32_e32 v41, 0x1000, v15
	v_lshl_or_b32 v42, v32, 12, v15
	s_wait_alu 0xfffd
	v_cndmask_b32_e64 v15, 0, 1, vcc_lo
	v_cmp_ne_u32_e32 vcc_lo, v8, v31
	v_lshrrev_b32_e32 v43, v29, v36
	v_lshlrev_b32_e32 v25, v25, v40
	v_lshrrev_b32_e32 v31, v28, v41
	v_cmp_gt_i32_e64 s1, 1, v32
	s_wait_alu 0xfffd
	v_cndmask_b32_e64 v8, 0, 1, vcc_lo
	v_lshl_or_b32 v11, v11, 9, 0x7c00
	v_cmp_ne_u32_e32 vcc_lo, v25, v33
	v_lshlrev_b32_e32 v28, v28, v31
	v_lshl_or_b32 v6, v6, 9, 0x7c00
	v_or_b32_e32 v8, v38, v8
	v_lshlrev_b32_e32 v29, v29, v43
	s_wait_alu 0xfffd
	v_cndmask_b32_e64 v25, 0, 1, vcc_lo
	v_lshrrev_b32_e32 v12, 16, v12
	v_lshrrev_b32_e32 v10, 16, v10
	v_lshl_or_b32 v15, v15, 9, 0x7c00
	v_cmp_ne_u32_e32 vcc_lo, v29, v36
	v_or_b32_e32 v25, v40, v25
	v_lshrrev_b32_e32 v34, 8, v18
	v_lshrrev_b32_e32 v16, 16, v16
	v_lshlrev_b64_e32 v[21:22], 2, v[21:22]
	s_wait_alu 0xfffd
	v_cndmask_b32_e64 v29, 0, 1, vcc_lo
	v_cmp_gt_i32_e32 vcc_lo, 1, v9
	v_and_or_b32 v17, 0xffe, v34, v17
	v_lshrrev_b32_e32 v14, 16, v14
	v_cvt_f32_f16_e32 v0, v0
	v_or_b32_e32 v29, v43, v29
	s_wait_alu 0xfffd
	v_cndmask_b32_e32 v8, v35, v8, vcc_lo
	v_cmp_ne_u32_e32 vcc_lo, v28, v41
	s_delay_alu instid0(VALU_DEP_2)
	v_and_b32_e32 v33, 7, v8
	s_wait_alu 0xfffd
	v_cndmask_b32_e64 v28, 0, 1, vcc_lo
	v_cmp_gt_i32_e32 vcc_lo, 1, v26
	v_lshrrev_b32_e32 v8, 2, v8
	v_cmp_eq_u32_e64 s0, 3, v33
	s_delay_alu instid0(VALU_DEP_4)
	v_or_b32_e32 v28, v31, v28
	s_wait_alu 0xfffd
	v_cndmask_b32_e32 v25, v37, v25, vcc_lo
	v_cmp_gt_i32_e32 vcc_lo, 1, v30
	s_wait_alu 0xf1ff
	v_cndmask_b32_e64 v28, v42, v28, s1
	s_delay_alu instid0(VALU_DEP_3)
	v_and_b32_e32 v31, 7, v25
	s_wait_alu 0xfffd
	v_cndmask_b32_e32 v29, v39, v29, vcc_lo
	v_cmp_lt_i32_e32 vcc_lo, 5, v33
	v_lshrrev_b32_e32 v25, 2, v25
	v_cmp_lt_i32_e64 s1, 5, v31
	v_cmp_eq_u32_e64 s2, 3, v31
	s_or_b32 vcc_lo, s0, vcc_lo
	v_cmp_gt_i32_e64 s0, 31, v26
	s_wait_alu 0xfffe
	v_add_co_ci_u32_e32 v8, vcc_lo, 0, v8, vcc_lo
	s_or_b32 vcc_lo, s2, s1
	v_and_b32_e32 v31, 7, v28
	s_wait_alu 0xfffe
	v_add_co_ci_u32_e32 v25, vcc_lo, 0, v25, vcc_lo
	v_cmp_eq_u32_e64 s2, 0x40f, v26
	v_lshrrev_b32_e32 v28, 2, v28
	v_cmp_eq_u32_e64 s1, 3, v31
	s_delay_alu instid0(VALU_DEP_4)
	v_cndmask_b32_e64 v25, 0x7c00, v25, s0
	v_cmp_gt_i32_e64 s0, 31, v9
	v_and_b32_e32 v33, 7, v29
	v_lshrrev_b32_e32 v29, 2, v29
	s_wait_alu 0xf1ff
	v_cndmask_b32_e64 v11, v25, v11, s2
	v_cndmask_b32_e64 v8, 0x7c00, v8, s0
	v_cmp_lt_i32_e64 s0, 5, v31
	v_cmp_eq_u32_e64 s2, 0x40f, v9
	v_cmp_lt_i32_e32 vcc_lo, 5, v33
	v_and_or_b32 v9, 0x8000, v12, v11
	s_delay_alu instid0(VALU_DEP_4) | instskip(NEXT) | instid1(VALU_DEP_3)
	s_or_b32 s0, s1, s0
	v_cndmask_b32_e64 v6, v8, v6, s2
	s_wait_alu 0xfffe
	v_add_co_ci_u32_e64 v8, s0, 0, v28, s0
	v_cmp_eq_u32_e64 s0, 3, v33
	v_cmp_gt_i32_e64 s1, 31, v32
	v_and_or_b32 v6, 0x8000, v10, v6
	v_and_b32_e32 v9, 0xffff, v9
	s_mul_u64 s[2:3], s[4:5], 0x438
	s_or_b32 vcc_lo, s0, vcc_lo
	v_cndmask_b32_e64 v8, 0x7c00, v8, s1
	s_wait_alu 0xfffe
	v_add_co_ci_u32_e32 v10, vcc_lo, 0, v29, vcc_lo
	v_cmp_eq_u32_e32 vcc_lo, 0x40f, v32
	v_lshl_or_b32 v25, v6, 16, v9
	v_bfe_u32 v6, v18, 20, 11
	v_lshrrev_b32_e32 v18, 16, v18
	s_wait_alu 0xfffd
	v_cndmask_b32_e32 v11, v8, v15, vcc_lo
	v_cvt_f64_f32_e32 v[8:9], v3
	v_cmp_ne_u32_e32 vcc_lo, 0, v13
	v_sub_nc_u32_e32 v12, 0x3f1, v6
	v_or_b32_e32 v13, 0x1000, v17
	v_and_or_b32 v15, 0x8000, v16, v11
	s_wait_alu 0xfffd
	v_cndmask_b32_e64 v3, 0, 1, vcc_lo
	v_cmp_gt_i32_e32 vcc_lo, 31, v30
	v_med3_i32 v12, v12, 0, 13
	s_delay_alu instid0(VALU_DEP_3)
	v_lshl_or_b32 v3, v3, 9, 0x7c00
	s_wait_alu 0xfffd
	v_cndmask_b32_e32 v10, 0x7c00, v10, vcc_lo
	v_cmp_eq_u32_e32 vcc_lo, 0x40f, v30
	v_lshrrev_b32_e32 v16, v12, v13
	s_wait_alu 0xfffd
	s_delay_alu instid0(VALU_DEP_1) | instskip(SKIP_3) | instid1(VALU_DEP_3)
	v_dual_cndmask_b32 v3, v10, v3 :: v_dual_lshlrev_b32 v12, v12, v16
	v_add_co_u32 v21, vcc_lo, s12, v21
	s_wait_alu 0xfffd
	v_add_co_ci_u32_e32 v22, vcc_lo, s13, v22, vcc_lo
	v_and_or_b32 v3, 0x8000, v14, v3
	v_and_b32_e32 v14, 0xffff, v15
	v_and_or_b32 v15, 0x1ff, v20, v19
	v_cmp_ne_u32_e32 vcc_lo, v12, v13
	v_add_nc_u32_e32 v19, 0xfffffc10, v6
	v_lshrrev_b32_e32 v13, 8, v20
	v_lshlrev_b64_e32 v[10:11], 2, v[23:24]
	v_bfe_u32 v23, v20, 20, 11
	s_wait_alu 0xfffd
	v_cndmask_b32_e64 v12, 0, 1, vcc_lo
	v_cmp_ne_u32_e32 vcc_lo, 0, v15
	v_lshl_or_b32 v3, v3, 16, v14
	v_lshrrev_b32_e32 v20, 16, v20
	v_sub_nc_u32_e32 v26, 0x3f1, v23
	v_or_b32_e32 v15, v16, v12
	s_wait_alu 0xfffd
	v_cndmask_b32_e64 v6, 0, 1, vcc_lo
	v_mul_f64_e32 v[8:9], s[8:9], v[8:9]
	v_lshl_or_b32 v16, v19, 12, v17
	v_cmp_gt_i32_e32 vcc_lo, 1, v19
	v_med3_i32 v26, v26, 0, 13
	v_and_or_b32 v24, 0xffe, v13, v6
	v_cvt_f64_f32_e32 v[12:13], v0
	ds_load_2addr_b32 v[5:6], v5 offset0:56 offset1:191
	s_wait_alu 0xfffd
	v_cndmask_b32_e32 v0, v16, v15, vcc_lo
	v_add_co_u32 v10, vcc_lo, v21, v10
	v_or_b32_e32 v16, 0x1000, v24
	s_wait_alu 0xfffd
	v_add_co_ci_u32_e32 v11, vcc_lo, v22, v11, vcc_lo
	v_and_b32_e32 v21, 7, v0
	v_add_co_u32 v14, vcc_lo, v10, s2
	v_lshrrev_b32_e32 v22, v26, v16
	s_wait_alu 0xfffd
	v_add_co_ci_u32_e32 v15, vcc_lo, s3, v11, vcc_lo
	v_cmp_lt_i32_e32 vcc_lo, 5, v21
	v_cmp_eq_u32_e64 s0, 3, v21
	v_lshlrev_b32_e32 v26, v26, v22
	v_lshrrev_b32_e32 v0, 2, v0
	v_add_nc_u32_e32 v23, 0xfffffc10, v23
	s_clause 0x1
	global_store_b32 v[10:11], v25, off
	global_store_b32 v[14:15], v3, off
	s_or_b32 vcc_lo, s0, vcc_lo
	v_cmp_ne_u32_e64 s1, v26, v16
	s_wait_dscnt 0x0
	v_lshrrev_b32_e32 v21, 16, v5
	s_wait_alu 0xfffe
	v_add_co_ci_u32_e32 v0, vcc_lo, 0, v0, vcc_lo
	v_cmp_ne_u32_e32 vcc_lo, 0, v17
	s_wait_alu 0xf1ff
	v_cndmask_b32_e64 v16, 0, 1, s1
	v_mul_f16_e32 v26, v58, v21
	s_wait_alu 0xfffd
	v_cndmask_b32_e64 v17, 0, 1, vcc_lo
	s_delay_alu instid0(VALU_DEP_3)
	v_or_b32_e32 v16, v22, v16
	v_lshl_or_b32 v22, v23, 12, v24
	v_cmp_gt_i32_e32 vcc_lo, 1, v23
	v_fmac_f16_e32 v26, v54, v5
	v_and_or_b32 v8, 0x1ff, v9, v8
	v_bfe_u32 v29, v9, 20, 11
	v_lshrrev_b32_e32 v28, 8, v9
	s_wait_alu 0xfffd
	v_cndmask_b32_e32 v22, v22, v16, vcc_lo
	v_cmp_gt_i32_e32 vcc_lo, 31, v19
	v_mul_f64_e32 v[12:13], s[8:9], v[12:13]
	v_cvt_f32_f16_e32 v16, v26
	v_lshl_or_b32 v26, v17, 9, 0x7c00
	s_wait_alu 0xfffd
	v_dual_cndmask_b32 v0, 0x7c00, v0 :: v_dual_and_b32 v27, 7, v22
	v_cmp_ne_u32_e32 vcc_lo, 0, v8
	v_cvt_f64_f32_e32 v[16:17], v16
	v_lshrrev_b32_e32 v22, 2, v22
	s_delay_alu instid0(VALU_DEP_4)
	v_cmp_eq_u32_e64 s0, 3, v27
	v_mul_f16_e32 v5, v58, v5
	s_wait_alu 0xfffd
	v_cndmask_b32_e64 v8, 0, 1, vcc_lo
	v_cmp_eq_u32_e32 vcc_lo, 0x40f, v19
	v_sub_nc_u32_e32 v19, 0x3f1, v29
	v_lshrrev_b32_e32 v9, 16, v9
	v_fma_f16 v5, v54, v21, -v5
	v_and_or_b32 v8, 0xffe, v28, v8
	s_wait_alu 0xfffd
	v_cndmask_b32_e32 v0, v0, v26, vcc_lo
	v_cmp_lt_i32_e32 vcc_lo, 5, v27
	v_med3_i32 v27, v19, 0, 13
	v_cvt_f32_f16_e32 v5, v5
	v_or_b32_e32 v26, 0x1000, v8
	v_and_or_b32 v0, 0x8000, v18, v0
	s_or_b32 vcc_lo, s0, vcc_lo
	s_wait_alu 0xfffe
	v_add_co_ci_u32_e32 v19, vcc_lo, 0, v22, vcc_lo
	v_cmp_ne_u32_e32 vcc_lo, 0, v24
	v_lshrrev_b32_e32 v22, v27, v26
	v_and_b32_e32 v0, 0xffff, v0
	s_wait_alu 0xfffd
	v_cndmask_b32_e64 v21, 0, 1, vcc_lo
	v_cmp_gt_i32_e32 vcc_lo, 31, v23
	s_delay_alu instid0(VALU_DEP_2)
	v_lshl_or_b32 v21, v21, 9, 0x7c00
	s_wait_alu 0xfffd
	v_cndmask_b32_e32 v24, 0x7c00, v19, vcc_lo
	v_cvt_f64_f32_e32 v[18:19], v5
	v_lshlrev_b32_e32 v5, v27, v22
	v_cmp_eq_u32_e32 vcc_lo, 0x40f, v23
	v_and_or_b32 v12, 0x1ff, v13, v12
	v_add_nc_u32_e32 v23, 0xfffffc10, v29
	v_mul_f64_e32 v[16:17], s[8:9], v[16:17]
	s_wait_alu 0xfffd
	v_cndmask_b32_e32 v21, v24, v21, vcc_lo
	v_cmp_ne_u32_e32 vcc_lo, v5, v26
	v_lshrrev_b32_e32 v24, 8, v13
	v_bfe_u32 v26, v13, 20, 11
	v_lshrrev_b32_e32 v13, 16, v13
	v_and_or_b32 v20, 0x8000, v20, v21
	s_wait_alu 0xfffd
	v_cndmask_b32_e64 v5, 0, 1, vcc_lo
	v_cmp_ne_u32_e32 vcc_lo, 0, v12
	v_lshl_or_b32 v21, v23, 12, v8
	v_lshl_or_b32 v0, v20, 16, v0
	s_delay_alu instid0(VALU_DEP_4) | instskip(SKIP_4) | instid1(VALU_DEP_3)
	v_or_b32_e32 v5, v22, v5
	s_wait_alu 0xfffd
	v_cndmask_b32_e64 v12, 0, 1, vcc_lo
	v_sub_nc_u32_e32 v22, 0x3f1, v26
	v_cmp_gt_i32_e32 vcc_lo, 1, v23
	v_and_or_b32 v12, 0xffe, v24, v12
	s_delay_alu instid0(VALU_DEP_3)
	v_med3_i32 v22, v22, 0, 13
	s_wait_alu 0xfffd
	v_cndmask_b32_e32 v5, v21, v5, vcc_lo
	v_add_co_u32 v10, vcc_lo, v14, s2
	v_or_b32_e32 v21, 0x1000, v12
	s_wait_alu 0xfffd
	v_add_co_ci_u32_e32 v11, vcc_lo, s3, v15, vcc_lo
	v_and_b32_e32 v3, 7, v5
	s_delay_alu instid0(VALU_DEP_3)
	v_lshrrev_b32_e32 v20, v22, v21
	global_store_b32 v[10:11], v0, off
	v_cmp_lt_i32_e32 vcc_lo, 5, v3
	v_cmp_eq_u32_e64 s0, 3, v3
	v_lshlrev_b32_e32 v22, v22, v20
	v_mul_f64_e32 v[14:15], s[8:9], v[18:19]
	v_lshrrev_b32_e32 v3, 2, v5
	v_lshrrev_b32_e32 v5, 16, v7
	s_or_b32 vcc_lo, s0, vcc_lo
	v_cmp_ne_u32_e64 s1, v22, v21
	v_add_nc_u32_e32 v21, 0xfffffc10, v26
	s_wait_alu 0xfffe
	v_add_co_ci_u32_e32 v3, vcc_lo, 0, v3, vcc_lo
	v_cmp_ne_u32_e32 vcc_lo, 0, v8
	s_wait_alu 0xf1ff
	v_cndmask_b32_e64 v18, 0, 1, s1
	v_and_or_b32 v16, 0x1ff, v17, v16
	v_mul_f16_e32 v19, v55, v5
	v_lshrrev_b32_e32 v22, 8, v17
	s_wait_alu 0xfffd
	v_cndmask_b32_e64 v8, 0, 1, vcc_lo
	v_or_b32_e32 v18, v20, v18
	v_lshl_or_b32 v20, v21, 12, v12
	v_cmp_gt_i32_e32 vcc_lo, 1, v21
	v_fmac_f16_e32 v19, v52, v7
	v_bfe_u32 v24, v17, 20, 11
	v_lshl_or_b32 v8, v8, 9, 0x7c00
	v_mul_f16_e32 v7, v55, v7
	s_wait_alu 0xfffd
	v_cndmask_b32_e32 v20, v20, v18, vcc_lo
	v_cmp_ne_u32_e32 vcc_lo, 0, v16
	v_cvt_f32_f16_e32 v18, v19
	v_lshrrev_b32_e32 v17, 16, v17
	v_fma_f16 v5, v52, v5, -v7
	v_and_b32_e32 v25, 7, v20
	s_wait_alu 0xfffd
	v_cndmask_b32_e64 v16, 0, 1, vcc_lo
	v_cmp_gt_i32_e32 vcc_lo, 31, v23
	v_cvt_f64_f32_e32 v[18:19], v18
	v_lshrrev_b32_e32 v20, 2, v20
	v_cmp_eq_u32_e64 s0, 3, v25
	v_and_or_b32 v16, 0xffe, v22, v16
	s_wait_alu 0xfffd
	v_cndmask_b32_e32 v3, 0x7c00, v3, vcc_lo
	v_sub_nc_u32_e32 v22, 0x3f1, v24
	v_cmp_eq_u32_e32 vcc_lo, 0x40f, v23
	v_cvt_f32_f16_e32 v5, v5
	v_add_nc_u32_e32 v24, 0xfffffc10, v24
	v_and_or_b32 v14, 0x1ff, v15, v14
	v_med3_i32 v22, v22, 0, 13
	s_wait_alu 0xfffd
	v_cndmask_b32_e32 v3, v3, v8, vcc_lo
	v_or_b32_e32 v8, 0x1000, v16
	v_cmp_lt_i32_e32 vcc_lo, 5, v25
	v_bfe_u32 v26, v15, 20, 11
	s_delay_alu instid0(VALU_DEP_4) | instskip(NEXT) | instid1(VALU_DEP_4)
	v_and_or_b32 v0, 0x8000, v9, v3
	v_lshrrev_b32_e32 v23, v22, v8
	s_or_b32 vcc_lo, s0, vcc_lo
	s_wait_alu 0xfffe
	v_add_co_ci_u32_e32 v20, vcc_lo, 0, v20, vcc_lo
	s_delay_alu instid0(VALU_DEP_2)
	v_lshlrev_b32_e32 v7, v22, v23
	v_cmp_ne_u32_e32 vcc_lo, 0, v14
	v_lshrrev_b32_e32 v22, 8, v15
	v_and_b32_e32 v0, 0xffff, v0
	v_lshrrev_b32_e32 v15, 16, v15
	s_wait_alu 0xfffd
	v_cndmask_b32_e64 v14, 0, 1, vcc_lo
	v_cmp_ne_u32_e32 vcc_lo, v7, v8
	v_cvt_f64_f32_e32 v[7:8], v5
	s_delay_alu instid0(VALU_DEP_3)
	v_and_or_b32 v14, 0xffe, v22, v14
	s_wait_alu 0xfffd
	v_cndmask_b32_e64 v25, 0, 1, vcc_lo
	v_cmp_ne_u32_e32 vcc_lo, 0, v12
	v_sub_nc_u32_e32 v12, 0x3f1, v26
	v_mul_f64_e32 v[18:19], s[8:9], v[18:19]
	s_delay_alu instid0(VALU_DEP_4)
	v_or_b32_e32 v22, v23, v25
	s_wait_alu 0xfffd
	v_cndmask_b32_e64 v5, 0, 1, vcc_lo
	v_cmp_gt_i32_e32 vcc_lo, 31, v21
	v_lshl_or_b32 v23, v24, 12, v16
	v_or_b32_e32 v25, 0x1000, v14
	v_med3_i32 v12, v12, 0, 13
	v_lshl_or_b32 v5, v5, 9, 0x7c00
	s_wait_alu 0xfffd
	v_cndmask_b32_e32 v20, 0x7c00, v20, vcc_lo
	v_cmp_gt_i32_e32 vcc_lo, 1, v24
	s_wait_alu 0xfffd
	v_cndmask_b32_e32 v22, v23, v22, vcc_lo
	v_lshrrev_b32_e32 v23, v12, v25
	v_cmp_eq_u32_e32 vcc_lo, 0x40f, v21
	v_add_nc_u32_e32 v21, 0xfffffc10, v26
	s_delay_alu instid0(VALU_DEP_4) | instskip(NEXT) | instid1(VALU_DEP_4)
	v_lshrrev_b32_e32 v9, 2, v22
	v_lshlrev_b32_e32 v12, v12, v23
	s_wait_alu 0xfffd
	v_dual_cndmask_b32 v5, v20, v5 :: v_dual_and_b32 v20, 7, v22
	s_delay_alu instid0(VALU_DEP_2) | instskip(NEXT) | instid1(VALU_DEP_2)
	v_cmp_ne_u32_e64 s0, v12, v25
	v_and_or_b32 v3, 0x8000, v13, v5
	s_delay_alu instid0(VALU_DEP_3)
	v_cmp_lt_i32_e32 vcc_lo, 5, v20
	v_lshl_or_b32 v12, v21, 12, v14
	s_wait_alu 0xf1ff
	v_cndmask_b32_e64 v5, 0, 1, s0
	v_cmp_eq_u32_e64 s0, 3, v20
	v_mul_f64_e32 v[7:8], s[8:9], v[7:8]
	v_lshl_or_b32 v0, v3, 16, v0
	s_delay_alu instid0(VALU_DEP_4) | instskip(NEXT) | instid1(VALU_DEP_4)
	v_or_b32_e32 v5, v23, v5
	s_or_b32 vcc_lo, s0, vcc_lo
	s_wait_alu 0xfffe
	v_add_co_ci_u32_e32 v9, vcc_lo, 0, v9, vcc_lo
	v_cmp_ne_u32_e32 vcc_lo, 0, v16
	v_lshrrev_b32_e32 v16, 16, v4
	v_bfe_u32 v20, v19, 20, 11
	s_wait_alu 0xfffd
	v_cndmask_b32_e64 v13, 0, 1, vcc_lo
	v_cmp_gt_i32_e32 vcc_lo, 1, v21
	s_delay_alu instid0(VALU_DEP_3) | instskip(SKIP_3) | instid1(VALU_DEP_3)
	v_sub_nc_u32_e32 v22, 0x3f1, v20
	s_wait_alu 0xfffd
	v_dual_cndmask_b32 v5, v12, v5 :: v_dual_add_nc_u32 v20, 0xfffffc10, v20
	v_cmp_gt_i32_e32 vcc_lo, 31, v24
	v_med3_i32 v22, v22, 0, 13
	s_delay_alu instid0(VALU_DEP_3)
	v_and_b32_e32 v12, 7, v5
	s_wait_alu 0xfffd
	v_cndmask_b32_e32 v3, 0x7c00, v9, vcc_lo
	v_lshl_or_b32 v9, v13, 9, 0x7c00
	v_cmp_eq_u32_e32 vcc_lo, 0x40f, v24
	v_and_or_b32 v13, 0x1ff, v19, v18
	v_lshrrev_b32_e32 v5, 2, v5
	v_lshrrev_b32_e32 v18, 8, v19
	s_wait_alu 0xfffd
	v_cndmask_b32_e32 v3, v3, v9, vcc_lo
	v_mul_f16_e32 v9, v53, v16
	v_cmp_ne_u32_e64 s0, 0, v13
	v_cmp_lt_i32_e32 vcc_lo, 5, v12
	s_delay_alu instid0(VALU_DEP_4) | instskip(NEXT) | instid1(VALU_DEP_4)
	v_and_or_b32 v17, 0x8000, v17, v3
	v_fmac_f16_e32 v9, v50, v4
	s_wait_alu 0xf1ff
	v_cndmask_b32_e64 v13, 0, 1, s0
	v_cmp_eq_u32_e64 s0, 3, v12
	v_mul_f16_e32 v3, v53, v4
	v_and_or_b32 v4, 0x1ff, v8, v7
	v_cvt_f32_f16_e32 v9, v9
	v_and_or_b32 v18, 0xffe, v18, v13
	s_or_b32 vcc_lo, s0, vcc_lo
	v_fma_f16 v3, v50, v16, -v3
	s_wait_alu 0xfffe
	v_add_co_ci_u32_e32 v5, vcc_lo, 0, v5, vcc_lo
	v_cvt_f64_f32_e32 v[12:13], v9
	v_add_co_u32 v9, vcc_lo, v10, s2
	s_wait_alu 0xfffd
	v_add_co_ci_u32_e32 v10, vcc_lo, s3, v11, vcc_lo
	v_cmp_gt_i32_e32 vcc_lo, 31, v21
	v_or_b32_e32 v23, 0x1000, v18
	v_lshrrev_b32_e32 v16, 8, v8
	v_cvt_f32_f16_e32 v3, v3
	global_store_b32 v[9:10], v0, off
	s_wait_alu 0xfffd
	v_cndmask_b32_e32 v5, 0x7c00, v5, vcc_lo
	v_cmp_ne_u32_e32 vcc_lo, 0, v14
	v_lshrrev_b32_e32 v11, v22, v23
	s_wait_alu 0xfffd
	v_cndmask_b32_e64 v7, 0, 1, vcc_lo
	v_cmp_ne_u32_e32 vcc_lo, 0, v4
	s_delay_alu instid0(VALU_DEP_3) | instskip(SKIP_1) | instid1(VALU_DEP_4)
	v_lshlrev_b32_e32 v14, v22, v11
	v_bfe_u32 v22, v8, 20, 11
	v_lshl_or_b32 v7, v7, 9, 0x7c00
	s_wait_alu 0xfffd
	v_cndmask_b32_e64 v4, 0, 1, vcc_lo
	v_cmp_ne_u32_e32 vcc_lo, v14, v23
	v_sub_nc_u32_e32 v23, 0x3f1, v22
	s_delay_alu instid0(VALU_DEP_3)
	v_and_or_b32 v16, 0xffe, v16, v4
	v_cvt_f64_f32_e32 v[3:4], v3
	s_wait_alu 0xfffd
	v_cndmask_b32_e64 v14, 0, 1, vcc_lo
	v_med3_i32 v23, v23, 0, 13
	v_cmp_eq_u32_e32 vcc_lo, 0x40f, v21
	v_or_b32_e32 v24, 0x1000, v16
	s_delay_alu instid0(VALU_DEP_4)
	v_or_b32_e32 v11, v11, v14
	v_lshl_or_b32 v14, v20, 12, v18
	s_wait_alu 0xfffd
	v_cndmask_b32_e32 v5, v5, v7, vcc_lo
	v_lshrrev_b32_e32 v7, v23, v24
	v_cmp_gt_i32_e32 vcc_lo, 1, v20
	s_delay_alu instid0(VALU_DEP_3)
	v_and_or_b32 v0, 0x8000, v15, v5
	s_wait_alu 0xfffd
	v_dual_cndmask_b32 v14, v14, v11 :: v_dual_and_b32 v5, 0xffff, v17
	v_mul_f64_e32 v[11:12], s[8:9], v[12:13]
	v_lshlrev_b32_e32 v13, v23, v7
	v_add_nc_u32_e32 v17, 0xfffffc10, v22
	s_delay_alu instid0(VALU_DEP_4)
	v_lshl_or_b32 v0, v0, 16, v5
	v_and_b32_e32 v15, 7, v14
	v_lshrrev_b32_e32 v14, 2, v14
	v_cmp_ne_u32_e32 vcc_lo, v13, v24
	v_cmp_gt_i32_e64 s1, 1, v17
	v_lshrrev_b32_e32 v5, 16, v2
	v_cmp_eq_u32_e64 s0, 3, v15
	s_wait_alu 0xfffd
	v_cndmask_b32_e64 v13, 0, 1, vcc_lo
	v_cmp_lt_i32_e32 vcc_lo, 5, v15
	v_mul_f16_e32 v15, v51, v5
	s_delay_alu instid0(VALU_DEP_3) | instskip(SKIP_2) | instid1(VALU_DEP_3)
	v_or_b32_e32 v7, v7, v13
	v_lshl_or_b32 v13, v17, 12, v16
	s_or_b32 vcc_lo, s0, vcc_lo
	v_fmac_f16_e32 v15, v48, v2
	s_delay_alu instid0(VALU_DEP_2)
	v_cndmask_b32_e64 v7, v13, v7, s1
	s_wait_alu 0xfffe
	v_add_co_ci_u32_e32 v13, vcc_lo, 0, v14, vcc_lo
	v_cmp_ne_u32_e32 vcc_lo, 0, v18
	v_mul_f64_e32 v[3:4], s[8:9], v[3:4]
	v_and_b32_e32 v18, 7, v7
	v_cvt_f32_f16_e32 v15, v15
	v_lshrrev_b32_e32 v7, 2, v7
	s_wait_alu 0xfffd
	v_cndmask_b32_e64 v14, 0, 1, vcc_lo
	v_cmp_gt_i32_e32 vcc_lo, 31, v20
	v_cmp_eq_u32_e64 s0, 3, v18
	v_cmp_eq_u32_e64 s1, 0x40f, v20
	s_delay_alu instid0(VALU_DEP_4)
	v_lshl_or_b32 v22, v14, 9, 0x7c00
	s_wait_alu 0xfffd
	v_cndmask_b32_e32 v21, 0x7c00, v13, vcc_lo
	v_cmp_lt_i32_e32 vcc_lo, 5, v18
	v_cvt_f64_f32_e32 v[13:14], v15
	v_and_or_b32 v11, 0x1ff, v12, v11
	v_lshrrev_b32_e32 v18, 16, v19
	s_wait_alu 0xf1ff
	v_cndmask_b32_e64 v15, v21, v22, s1
	s_or_b32 vcc_lo, s0, vcc_lo
	v_lshrrev_b32_e32 v19, 8, v12
	s_wait_alu 0xfffe
	v_add_co_ci_u32_e32 v7, vcc_lo, 0, v7, vcc_lo
	v_cmp_ne_u32_e32 vcc_lo, 0, v16
	v_bfe_u32 v20, v12, 20, 11
	v_and_or_b32 v15, 0x8000, v18, v15
	s_mul_i32 s0, s5, 0xfffff13c
	v_lshrrev_b32_e32 v12, 16, v12
	s_wait_alu 0xfffd
	v_cndmask_b32_e64 v16, 0, 1, vcc_lo
	v_cmp_ne_u32_e32 vcc_lo, 0, v11
	v_sub_nc_u32_e32 v18, 0x3f1, v20
	s_wait_alu 0xfffe
	s_sub_co_i32 s0, s0, s4
	v_and_b32_e32 v15, 0xffff, v15
	v_lshl_or_b32 v16, v16, 9, 0x7c00
	s_wait_alu 0xfffd
	v_cndmask_b32_e64 v11, 0, 1, vcc_lo
	v_cmp_gt_i32_e32 vcc_lo, 31, v17
	v_med3_i32 v18, v18, 0, 13
	s_delay_alu instid0(VALU_DEP_3)
	v_and_or_b32 v11, 0xffe, v19, v11
	s_wait_alu 0xfffd
	v_cndmask_b32_e32 v7, 0x7c00, v7, vcc_lo
	v_cmp_eq_u32_e32 vcc_lo, 0x40f, v17
	v_lshrrev_b32_e32 v17, 16, v8
	v_and_or_b32 v3, 0x1ff, v4, v3
	v_or_b32_e32 v19, 0x1000, v11
	v_bfe_u32 v21, v4, 20, 11
	s_wait_alu 0xfffd
	v_cndmask_b32_e32 v16, v7, v16, vcc_lo
	v_add_co_u32 v7, vcc_lo, v9, s2
	v_lshrrev_b32_e32 v9, v18, v19
	s_wait_alu 0xfffd
	v_add_co_ci_u32_e32 v8, vcc_lo, s3, v10, vcc_lo
	v_and_or_b32 v16, 0x8000, v17, v16
	v_mul_f16_e32 v10, v51, v2
	v_lshlrev_b32_e32 v17, v18, v9
	v_cmp_ne_u32_e32 vcc_lo, 0, v3
	v_mul_f64_e32 v[2:3], s[8:9], v[13:14]
	v_sub_nc_u32_e32 v14, 0x3f1, v21
	v_fma_f16 v5, v48, v5, -v10
	v_lshrrev_b32_e32 v10, 8, v4
	s_wait_alu 0xfffd
	v_cndmask_b32_e64 v18, 0, 1, vcc_lo
	v_cmp_ne_u32_e32 vcc_lo, v17, v19
	v_add_nc_u32_e32 v17, 0xfffffc10, v20
	v_cvt_f32_f16_e32 v5, v5
	v_med3_i32 v22, v14, 0, 13
	v_and_or_b32 v18, 0xffe, v10, v18
	s_wait_alu 0xfffd
	v_cndmask_b32_e64 v13, 0, 1, vcc_lo
	v_cmp_gt_i32_e32 vcc_lo, 1, v17
	global_store_b32 v[7:8], v0, off
	v_lshl_or_b32 v15, v16, 16, v15
	v_or_b32_e32 v20, 0x1000, v18
	v_or_b32_e32 v19, v9, v13
	v_cvt_f64_f32_e32 v[9:10], v5
	v_lshl_or_b32 v5, v17, 12, v11
	v_mad_co_u64_u32 v[13:14], null, 0xfffff13c, s4, v[7:8]
	v_lshrrev_b32_e32 v16, 16, v1
	v_cmp_eq_u32_e64 s1, 0x40f, v17
	s_wait_alu 0xfffd
	v_cndmask_b32_e32 v5, v5, v19, vcc_lo
	v_lshrrev_b32_e32 v19, v22, v20
	v_lshrrev_b32_e32 v4, 16, v4
	v_mul_f16_e32 v8, v49, v16
	s_wait_alu 0xfffe
	v_add_nc_u32_e32 v14, s0, v14
	v_and_b32_e32 v0, 7, v5
	v_lshlrev_b32_e32 v7, v22, v19
	v_fmac_f16_e32 v8, v46, v1
	s_delay_alu instid0(VALU_DEP_3) | instskip(NEXT) | instid1(VALU_DEP_3)
	v_cmp_lt_i32_e32 vcc_lo, 5, v0
	v_cmp_ne_u32_e64 s0, v7, v20
	v_add_nc_u32_e32 v20, 0xfffffc10, v21
	s_delay_alu instid0(VALU_DEP_4) | instskip(SKIP_1) | instid1(VALU_DEP_3)
	v_cvt_f32_f16_e32 v8, v8
	s_wait_alu 0xf1ff
	v_cndmask_b32_e64 v7, 0, 1, s0
	v_cmp_eq_u32_e64 s0, 3, v0
	v_lshrrev_b32_e32 v0, 2, v5
	v_and_or_b32 v2, 0x1ff, v3, v2
	v_bfe_u32 v21, v3, 20, 11
	v_or_b32_e32 v5, v19, v7
	s_or_b32 vcc_lo, s0, vcc_lo
	v_lshl_or_b32 v7, v20, 12, v18
	s_wait_alu 0xfffe
	v_add_co_ci_u32_e32 v0, vcc_lo, 0, v0, vcc_lo
	v_cmp_gt_i32_e32 vcc_lo, 1, v20
	v_lshrrev_b32_e32 v19, 8, v3
	s_wait_alu 0xfffd
	v_cndmask_b32_e32 v5, v7, v5, vcc_lo
	v_cmp_ne_u32_e32 vcc_lo, 0, v2
	v_cvt_f64_f32_e32 v[7:8], v8
	v_mul_f64_e32 v[9:10], s[8:9], v[9:10]
	s_delay_alu instid0(VALU_DEP_4)
	v_and_b32_e32 v22, 7, v5
	s_wait_alu 0xfffd
	v_cndmask_b32_e64 v2, 0, 1, vcc_lo
	v_cmp_ne_u32_e32 vcc_lo, 0, v11
	v_lshrrev_b32_e32 v5, 2, v5
	v_cmp_eq_u32_e64 s0, 3, v22
	s_delay_alu instid0(VALU_DEP_4)
	v_and_or_b32 v2, 0xffe, v19, v2
	s_wait_alu 0xfffd
	v_cndmask_b32_e64 v11, 0, 1, vcc_lo
	v_cmp_gt_i32_e32 vcc_lo, 31, v17
	v_sub_nc_u32_e32 v19, 0x3f1, v21
	v_or_b32_e32 v23, 0x1000, v2
	s_delay_alu instid0(VALU_DEP_4) | instskip(SKIP_4) | instid1(VALU_DEP_3)
	v_lshl_or_b32 v11, v11, 9, 0x7c00
	s_wait_alu 0xfffd
	v_cndmask_b32_e32 v0, 0x7c00, v0, vcc_lo
	v_cmp_lt_i32_e32 vcc_lo, 5, v22
	v_med3_i32 v19, v19, 0, 13
	v_cndmask_b32_e64 v0, v0, v11, s1
	s_or_b32 vcc_lo, s0, vcc_lo
	s_delay_alu instid0(VALU_DEP_2)
	v_lshrrev_b32_e32 v11, v19, v23
	s_wait_alu 0xfffe
	v_add_co_ci_u32_e32 v5, vcc_lo, 0, v5, vcc_lo
	v_cmp_ne_u32_e32 vcc_lo, 0, v18
	v_and_or_b32 v12, 0x8000, v12, v0
	v_lshlrev_b32_e32 v18, v19, v11
	v_add_nc_u32_e32 v19, 0xfffffc10, v21
	s_wait_alu 0xfffd
	v_cndmask_b32_e64 v17, 0, 1, vcc_lo
	v_cmp_gt_i32_e32 vcc_lo, 31, v20
	v_and_b32_e32 v12, 0xffff, v12
	s_delay_alu instid0(VALU_DEP_3)
	v_lshl_or_b32 v17, v17, 9, 0x7c00
	s_wait_alu 0xfffd
	v_cndmask_b32_e32 v5, 0x7c00, v5, vcc_lo
	v_cmp_ne_u32_e32 vcc_lo, v18, v23
	s_wait_alu 0xfffd
	v_cndmask_b32_e64 v18, 0, 1, vcc_lo
	v_cmp_eq_u32_e32 vcc_lo, 0x40f, v20
	s_delay_alu instid0(VALU_DEP_2)
	v_or_b32_e32 v11, v11, v18
	s_wait_alu 0xfffd
	v_cndmask_b32_e32 v5, v5, v17, vcc_lo
	v_mul_f16_e32 v17, v49, v1
	v_mul_f64_e32 v[0:1], s[8:9], v[7:8]
	v_lshl_or_b32 v7, v19, 12, v2
	v_and_or_b32 v8, 0x1ff, v10, v9
	v_cmp_gt_i32_e32 vcc_lo, 1, v19
	v_fma_f16 v9, v46, v16, -v17
	v_bfe_u32 v16, v10, 20, 11
	v_and_or_b32 v17, 0x8000, v4, v5
	s_wait_alu 0xfffd
	v_cndmask_b32_e32 v7, v7, v11, vcc_lo
	v_cmp_ne_u32_e32 vcc_lo, 0, v8
	v_cvt_f32_f16_e32 v9, v9
	v_lshrrev_b32_e32 v11, 8, v10
	v_lshl_or_b32 v17, v17, 16, v12
	v_and_b32_e32 v18, 7, v7
	s_wait_alu 0xfffd
	v_cndmask_b32_e64 v8, 0, 1, vcc_lo
	v_cvt_f64_f32_e32 v[4:5], v9
	v_lshrrev_b32_e32 v7, 2, v7
	v_lshrrev_b32_e32 v10, 16, v10
	v_cmp_lt_i32_e32 vcc_lo, 5, v18
	v_and_or_b32 v9, 0xffe, v11, v8
	v_sub_nc_u32_e32 v8, 0x3f1, v16
	v_lshrrev_b32_e32 v11, 16, v6
	v_cmp_eq_u32_e64 s0, 3, v18
	v_add_nc_u32_e32 v16, 0xfffffc10, v16
	v_or_b32_e32 v20, 0x1000, v9
	v_med3_i32 v8, v8, 0, 13
	v_mul_f16_e32 v21, v47, v11
	s_or_b32 vcc_lo, s0, vcc_lo
	s_wait_alu 0xfffe
	v_add_co_ci_u32_e32 v7, vcc_lo, 0, v7, vcc_lo
	v_lshrrev_b32_e32 v12, v8, v20
	v_fmac_f16_e32 v21, v45, v6
	v_cmp_ne_u32_e32 vcc_lo, 0, v2
	v_mul_f16_e32 v6, v47, v6
	s_delay_alu instid0(VALU_DEP_4) | instskip(NEXT) | instid1(VALU_DEP_4)
	v_lshlrev_b32_e32 v18, v8, v12
	v_cvt_f32_f16_e32 v8, v21
	s_wait_alu 0xfffd
	v_cndmask_b32_e64 v2, 0, 1, vcc_lo
	v_cmp_gt_i32_e32 vcc_lo, 31, v19
	v_and_or_b32 v0, 0x1ff, v1, v0
	v_fma_f16 v6, v45, v11, -v6
	v_lshl_or_b32 v11, v16, 12, v9
	v_lshl_or_b32 v2, v2, 9, 0x7c00
	s_wait_alu 0xfffd
	v_cndmask_b32_e32 v21, 0x7c00, v7, vcc_lo
	v_cvt_f64_f32_e32 v[7:8], v8
	v_cmp_ne_u32_e32 vcc_lo, v18, v20
	v_lshrrev_b32_e32 v20, 8, v1
	v_cvt_f32_f16_e32 v6, v6
	s_wait_alu 0xfffd
	v_cndmask_b32_e64 v18, 0, 1, vcc_lo
	v_cmp_ne_u32_e32 vcc_lo, 0, v0
	v_mul_f64_e32 v[4:5], s[8:9], v[4:5]
	s_delay_alu instid0(VALU_DEP_3)
	v_or_b32_e32 v12, v12, v18
	s_wait_alu 0xfffd
	v_cndmask_b32_e64 v0, 0, 1, vcc_lo
	v_bfe_u32 v18, v1, 20, 11
	v_cmp_gt_i32_e32 vcc_lo, 1, v16
	v_lshrrev_b32_e32 v1, 16, v1
	s_delay_alu instid0(VALU_DEP_4) | instskip(NEXT) | instid1(VALU_DEP_4)
	v_and_or_b32 v0, 0xffe, v20, v0
	v_sub_nc_u32_e32 v20, 0x3f1, v18
	s_wait_alu 0xfffd
	v_cndmask_b32_e32 v22, v11, v12, vcc_lo
	v_cmp_eq_u32_e32 vcc_lo, 0x40f, v19
	v_cvt_f64_f32_e32 v[11:12], v6
	v_or_b32_e32 v23, 0x1000, v0
	v_med3_i32 v20, v20, 0, 13
	v_lshrrev_b32_e32 v19, 16, v3
	s_wait_alu 0xfffd
	v_cndmask_b32_e32 v6, v21, v2, vcc_lo
	v_and_b32_e32 v21, 7, v22
	v_add_co_u32 v2, vcc_lo, v13, s2
	v_lshrrev_b32_e32 v24, v20, v23
	s_wait_alu 0xfffd
	v_add_co_ci_u32_e32 v3, vcc_lo, s3, v14, vcc_lo
	v_cmp_lt_i32_e32 vcc_lo, 5, v21
	v_cmp_eq_u32_e64 s0, 3, v21
	v_lshrrev_b32_e32 v21, 2, v22
	v_lshlrev_b32_e32 v20, v20, v24
	v_and_or_b32 v19, 0x8000, v19, v6
	v_add_nc_u32_e32 v18, 0xfffffc10, v18
	s_or_b32 vcc_lo, s0, vcc_lo
	v_mul_f64_e32 v[6:7], s[8:9], v[7:8]
	s_wait_alu 0xfffe
	v_add_co_ci_u32_e32 v8, vcc_lo, 0, v21, vcc_lo
	v_cmp_ne_u32_e64 s1, v20, v23
	v_cmp_ne_u32_e32 vcc_lo, 0, v9
	v_lshl_or_b32 v21, v18, 12, v0
	v_and_or_b32 v4, 0x1ff, v5, v4
	s_wait_alu 0xf1ff
	v_cndmask_b32_e64 v20, 0, 1, s1
	s_wait_alu 0xfffd
	v_cndmask_b32_e64 v9, 0, 1, vcc_lo
	v_cmp_gt_i32_e32 vcc_lo, 31, v16
	v_lshrrev_b32_e32 v22, 8, v5
	v_or_b32_e32 v20, v24, v20
	s_delay_alu instid0(VALU_DEP_4)
	v_lshl_or_b32 v9, v9, 9, 0x7c00
	s_wait_alu 0xfffd
	v_cndmask_b32_e32 v8, 0x7c00, v8, vcc_lo
	v_cmp_gt_i32_e32 vcc_lo, 1, v18
	s_wait_alu 0xfffd
	v_cndmask_b32_e32 v20, v21, v20, vcc_lo
	v_cmp_eq_u32_e32 vcc_lo, 0x40f, v16
	s_wait_alu 0xfffd
	s_delay_alu instid0(VALU_DEP_2)
	v_dual_cndmask_b32 v16, v8, v9 :: v_dual_and_b32 v21, 7, v20
	v_cmp_ne_u32_e32 vcc_lo, 0, v4
	v_mul_f64_e32 v[8:9], s[8:9], v[11:12]
	v_and_b32_e32 v12, 0xffff, v19
	v_bfe_u32 v11, v5, 20, 11
	v_and_or_b32 v10, 0x8000, v10, v16
	s_wait_alu 0xfffd
	v_cndmask_b32_e64 v4, 0, 1, vcc_lo
	v_cmp_lt_i32_e32 vcc_lo, 5, v21
	v_cmp_eq_u32_e64 s0, 3, v21
	v_sub_nc_u32_e32 v16, 0x3f1, v11
	v_lshl_or_b32 v10, v10, 16, v12
	v_lshrrev_b32_e32 v12, 2, v20
	v_and_or_b32 v4, 0xffe, v22, v4
	s_or_b32 vcc_lo, s0, vcc_lo
	v_med3_i32 v16, v16, 0, 13
	v_and_or_b32 v6, 0x1ff, v7, v6
	s_wait_alu 0xfffe
	v_add_co_ci_u32_e32 v12, vcc_lo, 0, v12, vcc_lo
	v_or_b32_e32 v19, 0x1000, v4
	v_cmp_ne_u32_e32 vcc_lo, 0, v0
	v_lshrrev_b32_e32 v21, 8, v7
	v_bfe_u32 v22, v7, 20, 11
	v_add_nc_u32_e32 v11, 0xfffffc10, v11
	v_lshrrev_b32_e32 v20, v16, v19
	s_wait_alu 0xfffd
	v_cndmask_b32_e64 v0, 0, 1, vcc_lo
	v_cmp_gt_i32_e32 vcc_lo, 31, v18
	v_lshrrev_b32_e32 v5, 16, v5
	v_lshrrev_b32_e32 v7, 16, v7
	v_lshlrev_b32_e32 v16, v16, v20
	v_lshl_or_b32 v0, v0, 9, 0x7c00
	s_wait_alu 0xfffd
	v_cndmask_b32_e32 v12, 0x7c00, v12, vcc_lo
	v_cmp_ne_u32_e32 vcc_lo, 0, v6
	s_wait_alu 0xfffd
	v_cndmask_b32_e64 v6, 0, 1, vcc_lo
	v_cmp_ne_u32_e32 vcc_lo, v16, v19
	v_sub_nc_u32_e32 v19, 0x3f1, v22
	v_and_or_b32 v8, 0x1ff, v9, v8
	s_delay_alu instid0(VALU_DEP_4)
	v_and_or_b32 v6, 0xffe, v21, v6
	s_wait_alu 0xfffd
	v_cndmask_b32_e64 v16, 0, 1, vcc_lo
	v_cmp_eq_u32_e32 vcc_lo, 0x40f, v18
	v_med3_i32 v19, v19, 0, 13
	v_bfe_u32 v21, v9, 20, 11
	v_or_b32_e32 v18, 0x1000, v6
	s_wait_alu 0xfffd
	v_cndmask_b32_e32 v0, v12, v0, vcc_lo
	v_or_b32_e32 v12, v20, v16
	v_lshl_or_b32 v16, v11, 12, v4
	v_cmp_gt_i32_e32 vcc_lo, 1, v11
	v_lshrrev_b32_e32 v20, 8, v9
	v_and_or_b32 v0, 0x8000, v1, v0
	s_wait_alu 0xfffd
	v_cndmask_b32_e32 v12, v16, v12, vcc_lo
	v_lshrrev_b32_e32 v16, v19, v18
	v_cmp_ne_u32_e32 vcc_lo, 0, v8
	s_delay_alu instid0(VALU_DEP_3) | instskip(NEXT) | instid1(VALU_DEP_3)
	v_and_b32_e32 v23, 7, v12
	v_lshlrev_b32_e32 v19, v19, v16
	s_wait_alu 0xfffd
	v_cndmask_b32_e64 v8, 0, 1, vcc_lo
	v_lshrrev_b32_e32 v12, 2, v12
	v_cmp_lt_i32_e32 vcc_lo, 5, v23
	v_cmp_ne_u32_e64 s0, v19, v18
	s_delay_alu instid0(VALU_DEP_4)
	v_and_or_b32 v1, 0xffe, v20, v8
	v_sub_nc_u32_e32 v8, 0x3f1, v21
	v_add_nc_u32_e32 v20, 0xfffffc10, v22
	s_wait_alu 0xf1ff
	v_cndmask_b32_e64 v18, 0, 1, s0
	v_cmp_eq_u32_e64 s0, 3, v23
	v_or_b32_e32 v19, 0x1000, v1
	v_med3_i32 v8, v8, 0, 13
	v_lshl_or_b32 v22, v20, 12, v6
	v_or_b32_e32 v16, v16, v18
	s_or_b32 vcc_lo, s0, vcc_lo
	s_wait_alu 0xfffe
	v_add_co_ci_u32_e32 v12, vcc_lo, 0, v12, vcc_lo
	v_lshrrev_b32_e32 v18, v8, v19
	v_cmp_gt_i32_e32 vcc_lo, 1, v20
	s_delay_alu instid0(VALU_DEP_2)
	v_lshlrev_b32_e32 v8, v8, v18
	s_wait_alu 0xfffd
	v_cndmask_b32_e32 v16, v22, v16, vcc_lo
	v_cmp_ne_u32_e32 vcc_lo, 0, v4
	s_wait_alu 0xfffd
	v_cndmask_b32_e64 v4, 0, 1, vcc_lo
	v_cmp_ne_u32_e32 vcc_lo, v8, v19
	v_add_nc_u32_e32 v19, 0xfffffc10, v21
	v_and_b32_e32 v21, 7, v16
	s_delay_alu instid0(VALU_DEP_4)
	v_lshl_or_b32 v4, v4, 9, 0x7c00
	s_wait_alu 0xfffd
	v_cndmask_b32_e64 v8, 0, 1, vcc_lo
	v_cmp_gt_i32_e32 vcc_lo, 31, v11
	v_cmp_gt_i32_e64 s1, 1, v19
	v_cmp_eq_u32_e64 s0, 3, v21
	s_delay_alu instid0(VALU_DEP_4)
	v_or_b32_e32 v8, v18, v8
	v_lshl_or_b32 v18, v19, 12, v1
	s_wait_alu 0xfffd
	v_cndmask_b32_e32 v12, 0x7c00, v12, vcc_lo
	v_cmp_lt_i32_e32 vcc_lo, 5, v21
	s_wait_alu 0xf1ff
	v_cndmask_b32_e64 v8, v18, v8, s1
	v_cmp_eq_u32_e64 s1, 0x40f, v11
	v_lshrrev_b32_e32 v11, 2, v16
	s_or_b32 vcc_lo, s0, vcc_lo
	s_delay_alu instid0(VALU_DEP_2) | instskip(SKIP_1) | instid1(VALU_DEP_2)
	v_cndmask_b32_e64 v4, v12, v4, s1
	s_wait_alu 0xfffe
	v_add_co_ci_u32_e32 v11, vcc_lo, 0, v11, vcc_lo
	v_and_b32_e32 v12, 7, v8
	v_cmp_ne_u32_e32 vcc_lo, 0, v6
	v_lshrrev_b32_e32 v8, 2, v8
	v_cmp_gt_i32_e64 s1, 31, v20
	v_and_or_b32 v4, 0x8000, v5, v4
	v_cmp_eq_u32_e64 s0, 3, v12
	s_wait_alu 0xfffd
	v_cndmask_b32_e64 v6, 0, 1, vcc_lo
	v_cmp_lt_i32_e32 vcc_lo, 5, v12
	s_wait_alu 0xf1ff
	v_cndmask_b32_e64 v11, 0x7c00, v11, s1
	v_and_b32_e32 v5, 0xffff, v0
	v_lshl_or_b32 v6, v6, 9, 0x7c00
	s_or_b32 vcc_lo, s0, vcc_lo
	s_wait_alu 0xfffe
	v_add_co_ci_u32_e32 v8, vcc_lo, 0, v8, vcc_lo
	v_cmp_ne_u32_e32 vcc_lo, 0, v1
	s_wait_alu 0xfffd
	v_cndmask_b32_e64 v1, 0, 1, vcc_lo
	v_cmp_eq_u32_e32 vcc_lo, 0x40f, v20
	s_delay_alu instid0(VALU_DEP_2) | instskip(SKIP_3) | instid1(VALU_DEP_2)
	v_lshl_or_b32 v1, v1, 9, 0x7c00
	s_wait_alu 0xfffd
	v_cndmask_b32_e32 v6, v11, v6, vcc_lo
	v_cmp_gt_i32_e32 vcc_lo, 31, v19
	v_and_or_b32 v6, 0x8000, v7, v6
	s_wait_alu 0xfffd
	v_cndmask_b32_e32 v8, 0x7c00, v8, vcc_lo
	v_cmp_eq_u32_e32 vcc_lo, 0x40f, v19
	s_wait_alu 0xfffd
	s_delay_alu instid0(VALU_DEP_2)
	v_dual_cndmask_b32 v7, v8, v1 :: v_dual_and_b32 v6, 0xffff, v6
	v_lshrrev_b32_e32 v8, 16, v9
	v_add_co_u32 v0, vcc_lo, v2, s2
	s_wait_alu 0xfffd
	v_add_co_ci_u32_e32 v1, vcc_lo, s3, v3, vcc_lo
	v_lshl_or_b32 v9, v4, 16, v5
	v_and_or_b32 v7, 0x8000, v8, v7
	v_add_co_u32 v4, vcc_lo, v0, s2
	s_wait_alu 0xfffd
	v_add_co_ci_u32_e32 v5, vcc_lo, s3, v1, vcc_lo
	s_delay_alu instid0(VALU_DEP_3) | instskip(NEXT) | instid1(VALU_DEP_3)
	v_lshl_or_b32 v8, v7, 16, v6
	v_add_co_u32 v6, vcc_lo, v4, s2
	s_wait_alu 0xfffd
	s_delay_alu instid0(VALU_DEP_3)
	v_add_co_ci_u32_e32 v7, vcc_lo, s3, v5, vcc_lo
	global_store_b32 v[13:14], v15, off
	global_store_b32 v[2:3], v17, off
	;; [unrolled: 1-line block ×5, first 2 shown]
.LBB0_26:
	s_nop 0
	s_sendmsg sendmsg(MSG_DEALLOC_VGPRS)
	s_endpgm
	.section	.rodata,"a",@progbits
	.p2align	6, 0x0
	.amdhsa_kernel bluestein_single_fwd_len1350_dim1_half_op_CI_CI
		.amdhsa_group_segment_fixed_size 5400
		.amdhsa_private_segment_fixed_size 0
		.amdhsa_kernarg_size 104
		.amdhsa_user_sgpr_count 2
		.amdhsa_user_sgpr_dispatch_ptr 0
		.amdhsa_user_sgpr_queue_ptr 0
		.amdhsa_user_sgpr_kernarg_segment_ptr 1
		.amdhsa_user_sgpr_dispatch_id 0
		.amdhsa_user_sgpr_private_segment_size 0
		.amdhsa_wavefront_size32 1
		.amdhsa_uses_dynamic_stack 0
		.amdhsa_enable_private_segment 0
		.amdhsa_system_sgpr_workgroup_id_x 1
		.amdhsa_system_sgpr_workgroup_id_y 0
		.amdhsa_system_sgpr_workgroup_id_z 0
		.amdhsa_system_sgpr_workgroup_info 0
		.amdhsa_system_vgpr_workitem_id 0
		.amdhsa_next_free_vgpr 152
		.amdhsa_next_free_sgpr 20
		.amdhsa_reserve_vcc 1
		.amdhsa_float_round_mode_32 0
		.amdhsa_float_round_mode_16_64 0
		.amdhsa_float_denorm_mode_32 3
		.amdhsa_float_denorm_mode_16_64 3
		.amdhsa_fp16_overflow 0
		.amdhsa_workgroup_processor_mode 1
		.amdhsa_memory_ordered 1
		.amdhsa_forward_progress 0
		.amdhsa_round_robin_scheduling 0
		.amdhsa_exception_fp_ieee_invalid_op 0
		.amdhsa_exception_fp_denorm_src 0
		.amdhsa_exception_fp_ieee_div_zero 0
		.amdhsa_exception_fp_ieee_overflow 0
		.amdhsa_exception_fp_ieee_underflow 0
		.amdhsa_exception_fp_ieee_inexact 0
		.amdhsa_exception_int_div_zero 0
	.end_amdhsa_kernel
	.text
.Lfunc_end0:
	.size	bluestein_single_fwd_len1350_dim1_half_op_CI_CI, .Lfunc_end0-bluestein_single_fwd_len1350_dim1_half_op_CI_CI
                                        ; -- End function
	.section	.AMDGPU.csdata,"",@progbits
; Kernel info:
; codeLenInByte = 19616
; NumSgprs: 22
; NumVgprs: 152
; ScratchSize: 0
; MemoryBound: 0
; FloatMode: 240
; IeeeMode: 1
; LDSByteSize: 5400 bytes/workgroup (compile time only)
; SGPRBlocks: 2
; VGPRBlocks: 18
; NumSGPRsForWavesPerEU: 22
; NumVGPRsForWavesPerEU: 152
; Occupancy: 9
; WaveLimiterHint : 1
; COMPUTE_PGM_RSRC2:SCRATCH_EN: 0
; COMPUTE_PGM_RSRC2:USER_SGPR: 2
; COMPUTE_PGM_RSRC2:TRAP_HANDLER: 0
; COMPUTE_PGM_RSRC2:TGID_X_EN: 1
; COMPUTE_PGM_RSRC2:TGID_Y_EN: 0
; COMPUTE_PGM_RSRC2:TGID_Z_EN: 0
; COMPUTE_PGM_RSRC2:TIDIG_COMP_CNT: 0
	.text
	.p2alignl 7, 3214868480
	.fill 96, 4, 3214868480
	.type	__hip_cuid_9e1cf907a24d484d,@object ; @__hip_cuid_9e1cf907a24d484d
	.section	.bss,"aw",@nobits
	.globl	__hip_cuid_9e1cf907a24d484d
__hip_cuid_9e1cf907a24d484d:
	.byte	0                               ; 0x0
	.size	__hip_cuid_9e1cf907a24d484d, 1

	.ident	"AMD clang version 19.0.0git (https://github.com/RadeonOpenCompute/llvm-project roc-6.4.0 25133 c7fe45cf4b819c5991fe208aaa96edf142730f1d)"
	.section	".note.GNU-stack","",@progbits
	.addrsig
	.addrsig_sym __hip_cuid_9e1cf907a24d484d
	.amdgpu_metadata
---
amdhsa.kernels:
  - .args:
      - .actual_access:  read_only
        .address_space:  global
        .offset:         0
        .size:           8
        .value_kind:     global_buffer
      - .actual_access:  read_only
        .address_space:  global
        .offset:         8
        .size:           8
        .value_kind:     global_buffer
      - .actual_access:  read_only
        .address_space:  global
        .offset:         16
        .size:           8
        .value_kind:     global_buffer
      - .actual_access:  read_only
        .address_space:  global
        .offset:         24
        .size:           8
        .value_kind:     global_buffer
      - .actual_access:  read_only
        .address_space:  global
        .offset:         32
        .size:           8
        .value_kind:     global_buffer
      - .offset:         40
        .size:           8
        .value_kind:     by_value
      - .address_space:  global
        .offset:         48
        .size:           8
        .value_kind:     global_buffer
      - .address_space:  global
        .offset:         56
        .size:           8
        .value_kind:     global_buffer
      - .address_space:  global
        .offset:         64
        .size:           8
        .value_kind:     global_buffer
      - .address_space:  global
        .offset:         72
        .size:           8
        .value_kind:     global_buffer
      - .offset:         80
        .size:           4
        .value_kind:     by_value
      - .address_space:  global
        .offset:         88
        .size:           8
        .value_kind:     global_buffer
      - .address_space:  global
        .offset:         96
        .size:           8
        .value_kind:     global_buffer
    .group_segment_fixed_size: 5400
    .kernarg_segment_align: 8
    .kernarg_segment_size: 104
    .language:       OpenCL C
    .language_version:
      - 2
      - 0
    .max_flat_workgroup_size: 135
    .name:           bluestein_single_fwd_len1350_dim1_half_op_CI_CI
    .private_segment_fixed_size: 0
    .sgpr_count:     22
    .sgpr_spill_count: 0
    .symbol:         bluestein_single_fwd_len1350_dim1_half_op_CI_CI.kd
    .uniform_work_group_size: 1
    .uses_dynamic_stack: false
    .vgpr_count:     152
    .vgpr_spill_count: 0
    .wavefront_size: 32
    .workgroup_processor_mode: 1
amdhsa.target:   amdgcn-amd-amdhsa--gfx1201
amdhsa.version:
  - 1
  - 2
...

	.end_amdgpu_metadata
